;; amdgpu-corpus repo=ROCm/rocSOLVER kind=compiled arch=gfx1250 opt=O3
	.amdgcn_target "amdgcn-amd-amdhsa--gfx1250"
	.amdhsa_code_object_version 6
	.section	.text._ZN9rocsolver6v33100L19stedc_update_splitsEiiiPi,"axG",@progbits,_ZN9rocsolver6v33100L19stedc_update_splitsEiiiPi,comdat
	.globl	_ZN9rocsolver6v33100L19stedc_update_splitsEiiiPi ; -- Begin function _ZN9rocsolver6v33100L19stedc_update_splitsEiiiPi
	.p2align	8
	.type	_ZN9rocsolver6v33100L19stedc_update_splitsEiiiPi,@function
_ZN9rocsolver6v33100L19stedc_update_splitsEiiiPi: ; @_ZN9rocsolver6v33100L19stedc_update_splitsEiiiPi
; %bb.0:
	s_clause 0x1
	s_load_b96 s[4:6], s[0:1], 0x0
	s_load_b64 s[14:15], s[0:1], 0x10
	s_bfe_u32 s2, ttmp6, 0x40010
	s_bfe_u32 s3, ttmp6, 0x40004
	s_add_co_i32 s2, s2, 1
	s_getreg_b32 s7, hwreg(HW_REG_IB_STS2, 6, 4)
	s_mul_i32 s2, ttmp7, s2
	s_delay_alu instid0(SALU_CYCLE_1)
	s_add_co_i32 s3, s3, s2
	s_cmp_eq_u32 s7, 0
	s_mov_b32 s7, 0
	s_cselect_b32 s2, ttmp7, s3
	s_wait_kmcnt 0x0
	s_mul_i32 s9, s2, s6
	s_lshl_b32 s8, s6, 2
	s_mul_i32 s10, s9, 13
	s_lshl_b32 s20, 1, s4
	s_ashr_i32 s11, s10, 31
	s_ashr_i32 s9, s8, 31
	s_lshl_b64 s[16:17], s[10:11], 2
	s_ashr_i32 s3, s6, 31
	v_cmp_gt_i32_e32 vcc_lo, s20, v0
	s_lshl_b64 s[18:19], s[8:9], 2
	s_mov_b32 s2, s6
	s_add_nc_u64 s[10:11], s[14:15], s[16:17]
	s_cmp_eq_u32 s5, 0
	s_mul_u64 s[12:13], s[2:3], -12
	s_add_nc_u64 s[8:9], s[10:11], s[18:19]
	s_cselect_b32 s21, -1, 0
	s_add_nc_u64 s[12:13], s[8:9], s[12:13]
	s_and_b32 s22, s21, vcc_lo
	s_delay_alu instid0(SALU_CYCLE_1)
	s_and_saveexec_b32 s21, s22
	s_cbranch_execz .LBB0_11
; %bb.1:
	s_load_b32 s22, s[0:1], 0x24
	v_dual_mov_b32 v3, 0 :: v_dual_mov_b32 v4, v0
	s_add_nc_u64 s[18:19], s[16:17], s[18:19]
	s_delay_alu instid0(SALU_CYCLE_1)
	s_add_nc_u64 s[14:15], s[14:15], s[18:19]
	s_wait_kmcnt 0x0
	s_and_b32 s16, s22, 0xffff
	s_branch .LBB0_3
.LBB0_2:                                ;   in Loop: Header=BB0_3 Depth=1
	s_or_b32 exec_lo, exec_lo, s17
	v_add_nc_u32_e32 v4, s16, v4
	s_delay_alu instid0(VALU_DEP_1) | instskip(SKIP_1) | instid1(SALU_CYCLE_1)
	v_cmp_le_i32_e32 vcc_lo, s20, v4
	s_or_b32 s7, vcc_lo, s7
	s_and_not1_b32 exec_lo, exec_lo, s7
	s_cbranch_execz .LBB0_11
.LBB0_3:                                ; =>This Loop Header: Depth=1
                                        ;     Child Loop BB0_6 Depth 2
                                        ;     Child Loop BB0_10 Depth 2
	global_load_b32 v1, v4, s[10:11] scale_offset
	s_mov_b32 s17, exec_lo
	s_wait_loadcnt 0x0
	s_wait_xcnt 0x0
	v_cmpx_lt_i32_e32 0, v1
	s_cbranch_execz .LBB0_2
; %bb.4:                                ;   in Loop: Header=BB0_3 Depth=1
	v_dual_mov_b32 v2, 0 :: v_dual_ashrrev_i32 v5, 31, v4
	s_mov_b32 s19, -1
	s_mov_b32 s18, exec_lo
	s_delay_alu instid0(VALU_DEP_1)
	v_lshl_add_u64 v[6:7], v[4:5], 2, s[12:13]
	global_load_b32 v6, v[6:7], off
	s_wait_xcnt 0x0
	v_cmpx_ne_u32_e32 1, v1
	s_cbranch_execz .LBB0_8
; %bb.5:                                ;   in Loop: Header=BB0_3 Depth=1
	v_and_b32_e32 v2, 0x7ffffffe, v1
	s_wait_loadcnt 0x0
	v_dual_mov_b32 v5, v4 :: v_dual_mov_b32 v8, v6
	s_mov_b32 s19, 0
	s_delay_alu instid0(VALU_DEP_2)
	v_mov_b32_e32 v7, v2
.LBB0_6:                                ;   Parent Loop BB0_3 Depth=1
                                        ; =>  This Inner Loop Header: Depth=2
	s_delay_alu instid0(VALU_DEP_1) | instskip(NEXT) | instid1(VALU_DEP_1)
	v_dual_add_nc_u32 v7, -2, v7 :: v_dual_ashrrev_i32 v9, 31, v8
	v_cmp_eq_u32_e32 vcc_lo, 0, v7
	s_delay_alu instid0(VALU_DEP_2)
	v_lshl_add_u64 v[10:11], v[8:9], 2, s[8:9]
	v_add_nc_u32_e32 v8, 2, v8
	s_or_b32 s19, vcc_lo, s19
	global_store_b64 v[10:11], v[4:5], off
	s_wait_xcnt 0x0
	s_and_not1_b32 exec_lo, exec_lo, s19
	s_cbranch_execnz .LBB0_6
; %bb.7:                                ;   in Loop: Header=BB0_3 Depth=1
	s_or_b32 exec_lo, exec_lo, s19
	v_cmp_ne_u32_e32 vcc_lo, v1, v2
	s_or_not1_b32 s19, vcc_lo, exec_lo
.LBB0_8:                                ;   in Loop: Header=BB0_3 Depth=1
	s_or_b32 exec_lo, exec_lo, s18
	s_delay_alu instid0(SALU_CYCLE_1)
	s_and_b32 exec_lo, exec_lo, s19
	s_cbranch_execz .LBB0_2
; %bb.9:                                ;   in Loop: Header=BB0_3 Depth=1
	s_wait_loadcnt 0x0
	v_ashrrev_i32_e32 v7, 31, v6
	v_sub_nc_u32_e32 v1, v1, v2
	s_mov_b32 s18, 0
	s_delay_alu instid0(VALU_DEP_2) | instskip(NEXT) | instid1(VALU_DEP_1)
	v_add_nc_u64_e32 v[6:7], v[6:7], v[2:3]
	v_lshl_add_u64 v[6:7], v[6:7], 2, s[14:15]
.LBB0_10:                               ;   Parent Loop BB0_3 Depth=1
                                        ; =>  This Inner Loop Header: Depth=2
	s_delay_alu instid0(VALU_DEP_3)
	v_add_nc_u32_e32 v1, -1, v1
	global_store_b32 v[6:7], v4, off
	s_wait_xcnt 0x0
	v_add_nc_u64_e32 v[6:7], 4, v[6:7]
	v_cmp_eq_u32_e32 vcc_lo, 0, v1
	s_or_b32 s18, vcc_lo, s18
	s_delay_alu instid0(SALU_CYCLE_1)
	s_and_not1_b32 exec_lo, exec_lo, s18
	s_cbranch_execnz .LBB0_10
	s_branch .LBB0_2
.LBB0_11:
	s_or_b32 exec_lo, exec_lo, s21
	s_lshl_b64 s[18:19], s[2:3], 4
	s_not_b32 s5, s5
	s_add_nc_u64 s[14:15], s[12:13], s[18:19]
	s_lshl_b64 s[16:17], s[2:3], 2
	s_add_co_i32 s7, s4, s5
	s_add_nc_u64 s[4:5], s[14:15], s[16:17]
	s_sub_nc_u64 s[18:19], 0, s[18:19]
	s_lshl_b32 s22, 2, s7
	s_add_nc_u64 s[20:21], s[4:5], s[18:19]
	s_mov_b32 s23, exec_lo
	s_add_nc_u64 s[18:19], s[20:21], s[16:17]
	v_cmpx_gt_i32_e64 s22, v0
	s_cbranch_execz .LBB0_14
; %bb.12:
	s_load_b32 s24, s[0:1], 0x24
	v_mov_b32_e32 v1, v0
	s_mov_b32 s25, 0
	s_wait_kmcnt 0x0
	s_and_b32 s24, s24, 0xffff
.LBB0_13:                               ; =>This Inner Loop Header: Depth=1
	global_load_b32 v2, v1, s[10:11] scale_offset
	s_wait_loadcnt 0x0
	s_clause 0x1
	global_store_b32 v1, v2, s[20:21] scale_offset
	global_load_b32 v2, v1, s[12:13] scale_offset
	s_wait_loadcnt 0x0
	global_store_b32 v1, v2, s[18:19] scale_offset
	s_wait_xcnt 0x0
	v_add_nc_u32_e32 v1, s24, v1
	s_delay_alu instid0(VALU_DEP_1) | instskip(SKIP_1) | instid1(SALU_CYCLE_1)
	v_cmp_le_i32_e32 vcc_lo, s22, v1
	s_or_b32 s25, vcc_lo, s25
	s_and_not1_b32 exec_lo, exec_lo, s25
	s_cbranch_execnz .LBB0_13
.LBB0_14:
	s_or_b32 exec_lo, exec_lo, s23
	s_lshl_b32 s7, 1, s7
	s_mov_b32 s22, exec_lo
	s_wait_loadcnt 0x0
	s_wait_storecnt 0x0
	s_barrier_signal -1
	s_barrier_wait -1
	v_cmpx_gt_i32_e64 s7, v0
	s_cbranch_execz .LBB0_17
; %bb.15:
	s_load_b32 s23, s[0:1], 0x24
	v_dual_mov_b32 v1, v0 :: v_dual_lshlrev_b32 v2, 1, v0
	s_mov_b32 s25, 0
	s_wait_kmcnt 0x0
	s_and_b32 s23, s23, 0xffff
	s_delay_alu instid0(SALU_CYCLE_1)
	s_lshl_b32 s24, s23, 1
.LBB0_16:                               ; =>This Inner Loop Header: Depth=1
	v_ashrrev_i32_e32 v3, 31, v2
	s_delay_alu instid0(VALU_DEP_1)
	v_lshl_add_u64 v[4:5], v[2:3], 2, s[20:21]
	s_clause 0x1
	global_load_b64 v[6:7], v[4:5], off
	global_load_b32 v3, v2, s[18:19] scale_offset
	s_wait_xcnt 0x0
	v_add_nc_u32_e32 v2, s24, v2
	s_wait_loadcnt 0x1
	v_add_nc_u32_e32 v4, v7, v6
	global_store_b32 v1, v4, s[10:11] scale_offset
	s_wait_loadcnt 0x0
	global_store_b32 v1, v3, s[12:13] scale_offset
	s_wait_xcnt 0x0
	v_add_nc_u32_e32 v1, s23, v1
	s_delay_alu instid0(VALU_DEP_1) | instskip(SKIP_1) | instid1(SALU_CYCLE_1)
	v_cmp_le_i32_e32 vcc_lo, s7, v1
	s_or_b32 s25, vcc_lo, s25
	s_and_not1_b32 exec_lo, exec_lo, s25
	s_cbranch_execnz .LBB0_16
.LBB0_17:
	s_or_b32 exec_lo, exec_lo, s22
	v_cmp_gt_i32_e32 vcc_lo, s6, v0
	s_wait_storecnt 0x0
	s_barrier_signal -1
	s_barrier_wait -1
	s_and_saveexec_b32 s7, vcc_lo
	s_cbranch_execz .LBB0_20
; %bb.18:
	s_load_b32 s22, s[0:1], 0x24
	s_mul_u64 s[2:3], s[2:3], 28
	v_dual_mov_b32 v1, 0 :: v_dual_mov_b32 v2, v0
	s_sub_nc_u64 s[20:21], 0, s[16:17]
	s_add_nc_u64 s[16:17], s[18:19], s[2:3]
	s_delay_alu instid0(SALU_CYCLE_1)
	s_add_nc_u64 s[18:19], s[16:17], s[20:21]
	s_mov_b32 s20, 0
	s_wait_kmcnt 0x0
	s_and_b32 s3, s22, 0xffff
.LBB0_19:                               ; =>This Inner Loop Header: Depth=1
	global_load_b32 v3, v2, s[8:9] scale_offset
	s_wait_loadcnt 0x0
	v_lshrrev_b32_e32 v4, 31, v3
	s_delay_alu instid0(VALU_DEP_1) | instskip(NEXT) | instid1(VALU_DEP_1)
	v_add_nc_u32_e32 v3, v3, v4
	v_ashrrev_i32_e32 v3, 1, v3
	global_load_b32 v4, v3, s[10:11] scale_offset
	s_wait_loadcnt 0x0
	s_clause 0x1
	global_store_b32 v2, v4, s[14:15] scale_offset
	global_load_b32 v3, v3, s[12:13] scale_offset
	s_wait_loadcnt 0x0
	s_clause 0x2
	global_store_b32 v2, v3, s[4:5] scale_offset
	global_store_b32 v2, v1, s[16:17] scale_offset
	;; [unrolled: 1-line block ×3, first 2 shown]
	s_wait_xcnt 0x0
	v_add_nc_u32_e32 v2, s3, v2
	s_delay_alu instid0(VALU_DEP_1) | instskip(SKIP_1) | instid1(SALU_CYCLE_1)
	v_cmp_le_i32_e64 s2, s6, v2
	s_or_b32 s20, s2, s20
	s_and_not1_b32 exec_lo, exec_lo, s20
	s_cbranch_execnz .LBB0_19
.LBB0_20:
	s_or_b32 exec_lo, exec_lo, s7
	s_wait_storecnt 0x0
	s_barrier_signal -1
	s_barrier_wait -1
	s_and_saveexec_b32 s2, vcc_lo
	s_cbranch_execz .LBB0_23
; %bb.21:
	s_load_b32 s0, s[0:1], 0x24
	s_wait_xcnt 0x0
	s_mov_b32 s1, 0
	s_wait_kmcnt 0x0
	s_and_b32 s0, s0, 0xffff
.LBB0_22:                               ; =>This Inner Loop Header: Depth=1
	global_load_b32 v1, v0, s[8:9] scale_offset
	s_wait_loadcnt 0x0
	v_lshrrev_b32_e32 v2, 31, v1
	s_delay_alu instid0(VALU_DEP_1) | instskip(NEXT) | instid1(VALU_DEP_1)
	v_add_nc_u32_e32 v1, v1, v2
	v_ashrrev_i32_e32 v1, 1, v1
	global_store_b32 v0, v1, s[8:9] scale_offset
	s_wait_xcnt 0x0
	v_add_nc_u32_e32 v0, s0, v0
	s_delay_alu instid0(VALU_DEP_1) | instskip(SKIP_1) | instid1(SALU_CYCLE_1)
	v_cmp_le_i32_e32 vcc_lo, s6, v0
	s_or_b32 s1, vcc_lo, s1
	s_and_not1_b32 exec_lo, exec_lo, s1
	s_cbranch_execnz .LBB0_22
.LBB0_23:
	s_endpgm
	.section	.rodata,"a",@progbits
	.p2align	6, 0x0
	.amdhsa_kernel _ZN9rocsolver6v33100L19stedc_update_splitsEiiiPi
		.amdhsa_group_segment_fixed_size 0
		.amdhsa_private_segment_fixed_size 0
		.amdhsa_kernarg_size 280
		.amdhsa_user_sgpr_count 2
		.amdhsa_user_sgpr_dispatch_ptr 0
		.amdhsa_user_sgpr_queue_ptr 0
		.amdhsa_user_sgpr_kernarg_segment_ptr 1
		.amdhsa_user_sgpr_dispatch_id 0
		.amdhsa_user_sgpr_kernarg_preload_length 0
		.amdhsa_user_sgpr_kernarg_preload_offset 0
		.amdhsa_user_sgpr_private_segment_size 0
		.amdhsa_wavefront_size32 1
		.amdhsa_uses_dynamic_stack 0
		.amdhsa_enable_private_segment 0
		.amdhsa_system_sgpr_workgroup_id_x 1
		.amdhsa_system_sgpr_workgroup_id_y 1
		.amdhsa_system_sgpr_workgroup_id_z 0
		.amdhsa_system_sgpr_workgroup_info 0
		.amdhsa_system_vgpr_workitem_id 0
		.amdhsa_next_free_vgpr 12
		.amdhsa_next_free_sgpr 26
		.amdhsa_named_barrier_count 0
		.amdhsa_reserve_vcc 1
		.amdhsa_float_round_mode_32 0
		.amdhsa_float_round_mode_16_64 0
		.amdhsa_float_denorm_mode_32 3
		.amdhsa_float_denorm_mode_16_64 3
		.amdhsa_fp16_overflow 0
		.amdhsa_memory_ordered 1
		.amdhsa_forward_progress 1
		.amdhsa_inst_pref_size 10
		.amdhsa_round_robin_scheduling 0
		.amdhsa_exception_fp_ieee_invalid_op 0
		.amdhsa_exception_fp_denorm_src 0
		.amdhsa_exception_fp_ieee_div_zero 0
		.amdhsa_exception_fp_ieee_overflow 0
		.amdhsa_exception_fp_ieee_underflow 0
		.amdhsa_exception_fp_ieee_inexact 0
		.amdhsa_exception_int_div_zero 0
	.end_amdhsa_kernel
	.section	.text._ZN9rocsolver6v33100L19stedc_update_splitsEiiiPi,"axG",@progbits,_ZN9rocsolver6v33100L19stedc_update_splitsEiiiPi,comdat
.Lfunc_end0:
	.size	_ZN9rocsolver6v33100L19stedc_update_splitsEiiiPi, .Lfunc_end0-_ZN9rocsolver6v33100L19stedc_update_splitsEiiiPi
                                        ; -- End function
	.set _ZN9rocsolver6v33100L19stedc_update_splitsEiiiPi.num_vgpr, 12
	.set _ZN9rocsolver6v33100L19stedc_update_splitsEiiiPi.num_agpr, 0
	.set _ZN9rocsolver6v33100L19stedc_update_splitsEiiiPi.numbered_sgpr, 26
	.set _ZN9rocsolver6v33100L19stedc_update_splitsEiiiPi.num_named_barrier, 0
	.set _ZN9rocsolver6v33100L19stedc_update_splitsEiiiPi.private_seg_size, 0
	.set _ZN9rocsolver6v33100L19stedc_update_splitsEiiiPi.uses_vcc, 1
	.set _ZN9rocsolver6v33100L19stedc_update_splitsEiiiPi.uses_flat_scratch, 0
	.set _ZN9rocsolver6v33100L19stedc_update_splitsEiiiPi.has_dyn_sized_stack, 0
	.set _ZN9rocsolver6v33100L19stedc_update_splitsEiiiPi.has_recursion, 0
	.set _ZN9rocsolver6v33100L19stedc_update_splitsEiiiPi.has_indirect_call, 0
	.section	.AMDGPU.csdata,"",@progbits
; Kernel info:
; codeLenInByte = 1252
; TotalNumSgprs: 28
; NumVgprs: 12
; ScratchSize: 0
; MemoryBound: 0
; FloatMode: 240
; IeeeMode: 1
; LDSByteSize: 0 bytes/workgroup (compile time only)
; SGPRBlocks: 0
; VGPRBlocks: 0
; NumSGPRsForWavesPerEU: 28
; NumVGPRsForWavesPerEU: 12
; NamedBarCnt: 0
; Occupancy: 16
; WaveLimiterHint : 1
; COMPUTE_PGM_RSRC2:SCRATCH_EN: 0
; COMPUTE_PGM_RSRC2:USER_SGPR: 2
; COMPUTE_PGM_RSRC2:TRAP_HANDLER: 0
; COMPUTE_PGM_RSRC2:TGID_X_EN: 1
; COMPUTE_PGM_RSRC2:TGID_Y_EN: 1
; COMPUTE_PGM_RSRC2:TGID_Z_EN: 0
; COMPUTE_PGM_RSRC2:TIDIG_COMP_CNT: 0
	.section	.text._ZN9rocsolver6v33100L10reset_infoIiiiEEvPT_T0_T1_S4_,"axG",@progbits,_ZN9rocsolver6v33100L10reset_infoIiiiEEvPT_T0_T1_S4_,comdat
	.globl	_ZN9rocsolver6v33100L10reset_infoIiiiEEvPT_T0_T1_S4_ ; -- Begin function _ZN9rocsolver6v33100L10reset_infoIiiiEEvPT_T0_T1_S4_
	.p2align	8
	.type	_ZN9rocsolver6v33100L10reset_infoIiiiEEvPT_T0_T1_S4_,@function
_ZN9rocsolver6v33100L10reset_infoIiiiEEvPT_T0_T1_S4_: ; @_ZN9rocsolver6v33100L10reset_infoIiiiEEvPT_T0_T1_S4_
; %bb.0:
	s_clause 0x1
	s_load_b32 s2, s[0:1], 0x24
	s_load_b96 s[4:6], s[0:1], 0x8
	s_bfe_u32 s3, ttmp6, 0x4000c
	s_and_b32 s7, ttmp6, 15
	s_add_co_i32 s3, s3, 1
	s_getreg_b32 s8, hwreg(HW_REG_IB_STS2, 6, 4)
	s_mul_i32 s3, ttmp9, s3
	s_delay_alu instid0(SALU_CYCLE_1) | instskip(SKIP_4) | instid1(SALU_CYCLE_1)
	s_add_co_i32 s7, s7, s3
	s_wait_kmcnt 0x0
	s_and_b32 s2, s2, 0xffff
	s_cmp_eq_u32 s8, 0
	s_cselect_b32 s3, ttmp9, s7
	v_mad_u32 v0, s3, s2, v0
	s_mov_b32 s2, exec_lo
	s_delay_alu instid0(VALU_DEP_1)
	v_cmpx_gt_i32_e64 s4, v0
	s_cbranch_execz .LBB1_2
; %bb.1:
	s_load_b64 s[0:1], s[0:1], 0x0
	v_mad_u32 v1, v0, s6, s5
	s_wait_kmcnt 0x0
	global_store_b32 v0, v1, s[0:1] scale_offset
.LBB1_2:
	s_endpgm
	.section	.rodata,"a",@progbits
	.p2align	6, 0x0
	.amdhsa_kernel _ZN9rocsolver6v33100L10reset_infoIiiiEEvPT_T0_T1_S4_
		.amdhsa_group_segment_fixed_size 0
		.amdhsa_private_segment_fixed_size 0
		.amdhsa_kernarg_size 280
		.amdhsa_user_sgpr_count 2
		.amdhsa_user_sgpr_dispatch_ptr 0
		.amdhsa_user_sgpr_queue_ptr 0
		.amdhsa_user_sgpr_kernarg_segment_ptr 1
		.amdhsa_user_sgpr_dispatch_id 0
		.amdhsa_user_sgpr_kernarg_preload_length 0
		.amdhsa_user_sgpr_kernarg_preload_offset 0
		.amdhsa_user_sgpr_private_segment_size 0
		.amdhsa_wavefront_size32 1
		.amdhsa_uses_dynamic_stack 0
		.amdhsa_enable_private_segment 0
		.amdhsa_system_sgpr_workgroup_id_x 1
		.amdhsa_system_sgpr_workgroup_id_y 0
		.amdhsa_system_sgpr_workgroup_id_z 0
		.amdhsa_system_sgpr_workgroup_info 0
		.amdhsa_system_vgpr_workitem_id 0
		.amdhsa_next_free_vgpr 2
		.amdhsa_next_free_sgpr 9
		.amdhsa_named_barrier_count 0
		.amdhsa_reserve_vcc 0
		.amdhsa_float_round_mode_32 0
		.amdhsa_float_round_mode_16_64 0
		.amdhsa_float_denorm_mode_32 3
		.amdhsa_float_denorm_mode_16_64 3
		.amdhsa_fp16_overflow 0
		.amdhsa_memory_ordered 1
		.amdhsa_forward_progress 1
		.amdhsa_inst_pref_size 2
		.amdhsa_round_robin_scheduling 0
		.amdhsa_exception_fp_ieee_invalid_op 0
		.amdhsa_exception_fp_denorm_src 0
		.amdhsa_exception_fp_ieee_div_zero 0
		.amdhsa_exception_fp_ieee_overflow 0
		.amdhsa_exception_fp_ieee_underflow 0
		.amdhsa_exception_fp_ieee_inexact 0
		.amdhsa_exception_int_div_zero 0
	.end_amdhsa_kernel
	.section	.text._ZN9rocsolver6v33100L10reset_infoIiiiEEvPT_T0_T1_S4_,"axG",@progbits,_ZN9rocsolver6v33100L10reset_infoIiiiEEvPT_T0_T1_S4_,comdat
.Lfunc_end1:
	.size	_ZN9rocsolver6v33100L10reset_infoIiiiEEvPT_T0_T1_S4_, .Lfunc_end1-_ZN9rocsolver6v33100L10reset_infoIiiiEEvPT_T0_T1_S4_
                                        ; -- End function
	.set _ZN9rocsolver6v33100L10reset_infoIiiiEEvPT_T0_T1_S4_.num_vgpr, 2
	.set _ZN9rocsolver6v33100L10reset_infoIiiiEEvPT_T0_T1_S4_.num_agpr, 0
	.set _ZN9rocsolver6v33100L10reset_infoIiiiEEvPT_T0_T1_S4_.numbered_sgpr, 9
	.set _ZN9rocsolver6v33100L10reset_infoIiiiEEvPT_T0_T1_S4_.num_named_barrier, 0
	.set _ZN9rocsolver6v33100L10reset_infoIiiiEEvPT_T0_T1_S4_.private_seg_size, 0
	.set _ZN9rocsolver6v33100L10reset_infoIiiiEEvPT_T0_T1_S4_.uses_vcc, 0
	.set _ZN9rocsolver6v33100L10reset_infoIiiiEEvPT_T0_T1_S4_.uses_flat_scratch, 0
	.set _ZN9rocsolver6v33100L10reset_infoIiiiEEvPT_T0_T1_S4_.has_dyn_sized_stack, 0
	.set _ZN9rocsolver6v33100L10reset_infoIiiiEEvPT_T0_T1_S4_.has_recursion, 0
	.set _ZN9rocsolver6v33100L10reset_infoIiiiEEvPT_T0_T1_S4_.has_indirect_call, 0
	.section	.AMDGPU.csdata,"",@progbits
; Kernel info:
; codeLenInByte = 136
; TotalNumSgprs: 9
; NumVgprs: 2
; ScratchSize: 0
; MemoryBound: 0
; FloatMode: 240
; IeeeMode: 1
; LDSByteSize: 0 bytes/workgroup (compile time only)
; SGPRBlocks: 0
; VGPRBlocks: 0
; NumSGPRsForWavesPerEU: 9
; NumVGPRsForWavesPerEU: 2
; NamedBarCnt: 0
; Occupancy: 16
; WaveLimiterHint : 0
; COMPUTE_PGM_RSRC2:SCRATCH_EN: 0
; COMPUTE_PGM_RSRC2:USER_SGPR: 2
; COMPUTE_PGM_RSRC2:TRAP_HANDLER: 0
; COMPUTE_PGM_RSRC2:TGID_X_EN: 1
; COMPUTE_PGM_RSRC2:TGID_Y_EN: 0
; COMPUTE_PGM_RSRC2:TGID_Z_EN: 0
; COMPUTE_PGM_RSRC2:TIDIG_COMP_CNT: 0
	.section	.text._ZN9rocsolver6v33100L16reset_batch_infoIfiiPfEEvT2_lT0_T1_,"axG",@progbits,_ZN9rocsolver6v33100L16reset_batch_infoIfiiPfEEvT2_lT0_T1_,comdat
	.globl	_ZN9rocsolver6v33100L16reset_batch_infoIfiiPfEEvT2_lT0_T1_ ; -- Begin function _ZN9rocsolver6v33100L16reset_batch_infoIfiiPfEEvT2_lT0_T1_
	.p2align	8
	.type	_ZN9rocsolver6v33100L16reset_batch_infoIfiiPfEEvT2_lT0_T1_,@function
_ZN9rocsolver6v33100L16reset_batch_infoIfiiPfEEvT2_lT0_T1_: ; @_ZN9rocsolver6v33100L16reset_batch_infoIfiiPfEEvT2_lT0_T1_
; %bb.0:
	s_clause 0x1
	s_load_b32 s5, s[0:1], 0x24
	s_load_b64 s[2:3], s[0:1], 0x10
	s_bfe_u32 s4, ttmp6, 0x4000c
	s_and_b32 s6, ttmp6, 15
	s_add_co_i32 s7, s4, 1
	s_getreg_b32 s4, hwreg(HW_REG_IB_STS2, 6, 4)
	s_mul_i32 s7, ttmp9, s7
	s_delay_alu instid0(SALU_CYCLE_1) | instskip(SKIP_4) | instid1(SALU_CYCLE_1)
	s_add_co_i32 s6, s6, s7
	s_wait_kmcnt 0x0
	s_and_b32 s5, s5, 0xffff
	s_cmp_eq_u32 s4, 0
	s_cselect_b32 s6, ttmp9, s6
	v_mad_u32 v0, s6, s5, v0
	s_delay_alu instid0(VALU_DEP_1)
	v_cmp_gt_i32_e32 vcc_lo, s2, v0
	s_and_saveexec_b32 s2, vcc_lo
	s_cbranch_execz .LBB2_2
; %bb.1:
	s_load_b128 s[8:11], s[0:1], 0x0
	s_wait_xcnt 0x0
	s_bfe_u32 s0, ttmp6, 0x40010
	s_bfe_u32 s1, ttmp6, 0x40004
	s_add_co_i32 s0, s0, 1
	s_cvt_f32_i32 s2, s3
	s_mul_i32 s0, ttmp7, s0
	s_delay_alu instid0(SALU_CYCLE_1) | instskip(SKIP_3) | instid1(SALU_CYCLE_1)
	s_add_co_i32 s1, s1, s0
	s_cmp_eq_u32 s4, 0
	v_mov_b32_e32 v1, s2
	s_cselect_b32 s0, ttmp7, s1
	s_ashr_i32 s1, s0, 31
	s_wait_kmcnt 0x0
	s_mul_u64 s[0:1], s[10:11], s[0:1]
	s_delay_alu instid0(SALU_CYCLE_1) | instskip(NEXT) | instid1(SALU_CYCLE_1)
	s_lshl_b64 s[0:1], s[0:1], 2
	s_add_nc_u64 s[0:1], s[8:9], s[0:1]
	global_store_b32 v0, v1, s[0:1] scale_offset
.LBB2_2:
	s_endpgm
	.section	.rodata,"a",@progbits
	.p2align	6, 0x0
	.amdhsa_kernel _ZN9rocsolver6v33100L16reset_batch_infoIfiiPfEEvT2_lT0_T1_
		.amdhsa_group_segment_fixed_size 0
		.amdhsa_private_segment_fixed_size 0
		.amdhsa_kernarg_size 280
		.amdhsa_user_sgpr_count 2
		.amdhsa_user_sgpr_dispatch_ptr 0
		.amdhsa_user_sgpr_queue_ptr 0
		.amdhsa_user_sgpr_kernarg_segment_ptr 1
		.amdhsa_user_sgpr_dispatch_id 0
		.amdhsa_user_sgpr_kernarg_preload_length 0
		.amdhsa_user_sgpr_kernarg_preload_offset 0
		.amdhsa_user_sgpr_private_segment_size 0
		.amdhsa_wavefront_size32 1
		.amdhsa_uses_dynamic_stack 0
		.amdhsa_enable_private_segment 0
		.amdhsa_system_sgpr_workgroup_id_x 1
		.amdhsa_system_sgpr_workgroup_id_y 1
		.amdhsa_system_sgpr_workgroup_id_z 0
		.amdhsa_system_sgpr_workgroup_info 0
		.amdhsa_system_vgpr_workitem_id 0
		.amdhsa_next_free_vgpr 2
		.amdhsa_next_free_sgpr 12
		.amdhsa_named_barrier_count 0
		.amdhsa_reserve_vcc 1
		.amdhsa_float_round_mode_32 0
		.amdhsa_float_round_mode_16_64 0
		.amdhsa_float_denorm_mode_32 3
		.amdhsa_float_denorm_mode_16_64 3
		.amdhsa_fp16_overflow 0
		.amdhsa_memory_ordered 1
		.amdhsa_forward_progress 1
		.amdhsa_inst_pref_size 2
		.amdhsa_round_robin_scheduling 0
		.amdhsa_exception_fp_ieee_invalid_op 0
		.amdhsa_exception_fp_denorm_src 0
		.amdhsa_exception_fp_ieee_div_zero 0
		.amdhsa_exception_fp_ieee_overflow 0
		.amdhsa_exception_fp_ieee_underflow 0
		.amdhsa_exception_fp_ieee_inexact 0
		.amdhsa_exception_int_div_zero 0
	.end_amdhsa_kernel
	.section	.text._ZN9rocsolver6v33100L16reset_batch_infoIfiiPfEEvT2_lT0_T1_,"axG",@progbits,_ZN9rocsolver6v33100L16reset_batch_infoIfiiPfEEvT2_lT0_T1_,comdat
.Lfunc_end2:
	.size	_ZN9rocsolver6v33100L16reset_batch_infoIfiiPfEEvT2_lT0_T1_, .Lfunc_end2-_ZN9rocsolver6v33100L16reset_batch_infoIfiiPfEEvT2_lT0_T1_
                                        ; -- End function
	.set _ZN9rocsolver6v33100L16reset_batch_infoIfiiPfEEvT2_lT0_T1_.num_vgpr, 2
	.set _ZN9rocsolver6v33100L16reset_batch_infoIfiiPfEEvT2_lT0_T1_.num_agpr, 0
	.set _ZN9rocsolver6v33100L16reset_batch_infoIfiiPfEEvT2_lT0_T1_.numbered_sgpr, 12
	.set _ZN9rocsolver6v33100L16reset_batch_infoIfiiPfEEvT2_lT0_T1_.num_named_barrier, 0
	.set _ZN9rocsolver6v33100L16reset_batch_infoIfiiPfEEvT2_lT0_T1_.private_seg_size, 0
	.set _ZN9rocsolver6v33100L16reset_batch_infoIfiiPfEEvT2_lT0_T1_.uses_vcc, 1
	.set _ZN9rocsolver6v33100L16reset_batch_infoIfiiPfEEvT2_lT0_T1_.uses_flat_scratch, 0
	.set _ZN9rocsolver6v33100L16reset_batch_infoIfiiPfEEvT2_lT0_T1_.has_dyn_sized_stack, 0
	.set _ZN9rocsolver6v33100L16reset_batch_infoIfiiPfEEvT2_lT0_T1_.has_recursion, 0
	.set _ZN9rocsolver6v33100L16reset_batch_infoIfiiPfEEvT2_lT0_T1_.has_indirect_call, 0
	.section	.AMDGPU.csdata,"",@progbits
; Kernel info:
; codeLenInByte = 196
; TotalNumSgprs: 14
; NumVgprs: 2
; ScratchSize: 0
; MemoryBound: 0
; FloatMode: 240
; IeeeMode: 1
; LDSByteSize: 0 bytes/workgroup (compile time only)
; SGPRBlocks: 0
; VGPRBlocks: 0
; NumSGPRsForWavesPerEU: 14
; NumVGPRsForWavesPerEU: 2
; NamedBarCnt: 0
; Occupancy: 16
; WaveLimiterHint : 0
; COMPUTE_PGM_RSRC2:SCRATCH_EN: 0
; COMPUTE_PGM_RSRC2:USER_SGPR: 2
; COMPUTE_PGM_RSRC2:TRAP_HANDLER: 0
; COMPUTE_PGM_RSRC2:TGID_X_EN: 1
; COMPUTE_PGM_RSRC2:TGID_Y_EN: 1
; COMPUTE_PGM_RSRC2:TGID_Z_EN: 0
; COMPUTE_PGM_RSRC2:TIDIG_COMP_CNT: 0
	.section	.text._ZN9rocsolver6v33100L12sterf_kernelIfEEviPT_lS3_lPiS4_iS2_S2_S2_,"axG",@progbits,_ZN9rocsolver6v33100L12sterf_kernelIfEEviPT_lS3_lPiS4_iS2_S2_S2_,comdat
	.globl	_ZN9rocsolver6v33100L12sterf_kernelIfEEviPT_lS3_lPiS4_iS2_S2_S2_ ; -- Begin function _ZN9rocsolver6v33100L12sterf_kernelIfEEviPT_lS3_lPiS4_iS2_S2_S2_
	.p2align	8
	.type	_ZN9rocsolver6v33100L12sterf_kernelIfEEviPT_lS3_lPiS4_iS2_S2_S2_,@function
_ZN9rocsolver6v33100L12sterf_kernelIfEEviPT_lS3_lPiS4_iS2_S2_S2_: ; @_ZN9rocsolver6v33100L12sterf_kernelIfEEviPT_lS3_lPiS4_iS2_S2_S2_
; %bb.0:
	s_clause 0x2
	s_load_b256 s[4:11], s[0:1], 0x8
	s_load_b32 s33, s[0:1], 0x0
	s_load_b128 s[12:15], s[0:1], 0x38
	s_bfe_u32 s2, ttmp6, 0x4000c
	s_and_b32 s3, ttmp6, 15
	s_add_co_i32 s2, s2, 1
	s_getreg_b32 s16, hwreg(HW_REG_IB_STS2, 6, 4)
	s_mul_i32 s2, ttmp9, s2
	s_mov_b32 s52, 0
	s_add_co_i32 s3, s3, s2
	s_cmp_eq_u32 s16, 0
	s_cselect_b32 s16, ttmp9, s3
	s_delay_alu instid0(SALU_CYCLE_1)
	s_ashr_i32 s17, s16, 31
	s_wait_kmcnt 0x0
	s_mul_u64 s[2:3], s[6:7], s[16:17]
	s_mul_u64 s[6:7], s[10:11], s[16:17]
	s_min_i32 s18, s33, s12
	s_lshl_b64 s[10:11], s[2:3], 2
	s_lshl_b64 s[2:3], s[6:7], 2
	s_cmp_lt_i32 s18, 1
	s_add_nc_u64 s[6:7], s[4:5], s[10:11]
	s_add_nc_u64 s[10:11], s[8:9], s[2:3]
	s_cbranch_scc1 .LBB3_158
; %bb.1:
	v_mov_b64_e32 v[0:1], 0xbf0000003f000000
	v_mov_b32_e32 v10, 0
	s_mul_f32 s51, s13, s13
	s_add_nc_u64 s[8:9], s[8:9], s[2:3]
	s_add_co_i32 s50, s33, -1
	s_add_nc_u64 s[18:19], s[8:9], -4
	s_add_nc_u64 s[20:21], s[6:7], 4
	s_add_nc_u64 s[22:23], s[8:9], 4
	s_mov_b32 s53, 0
	s_branch .LBB3_3
.LBB3_2:                                ;   in Loop: Header=BB3_3 Depth=1
	s_and_not1_b32 vcc_lo, exec_lo, s2
	s_cbranch_vccz .LBB3_27
.LBB3_3:                                ; =>This Loop Header: Depth=1
                                        ;     Child Loop BB3_8 Depth 2
                                        ;     Child Loop BB3_17 Depth 2
	;; [unrolled: 1-line block ×8, first 2 shown]
                                        ;       Child Loop BB3_59 Depth 3
                                        ;       Child Loop BB3_71 Depth 3
                                        ;     Child Loop BB3_114 Depth 2
                                        ;       Child Loop BB3_117 Depth 3
                                        ;       Child Loop BB3_129 Depth 3
                                        ;     Child Loop BB3_105 Depth 2
                                        ;     Child Loop BB3_109 Depth 2
	s_mov_b32 s24, s52
	s_cmp_lt_i32 s52, 1
	s_cbranch_scc1 .LBB3_5
; %bb.4:                                ;   in Loop: Header=BB3_3 Depth=1
	s_wait_xcnt 0x0
	v_mov_b32_e32 v2, s24
	global_store_b32 v2, v10, s[10:11] offset:-4 scale_offset
.LBB3_5:                                ;   in Loop: Header=BB3_3 Depth=1
	s_ashr_i32 s25, s24, 31
	s_mov_b32 s26, s24
	s_lshl_b64 s[28:29], s[24:25], 2
	s_delay_alu instid0(SALU_CYCLE_1)
	s_add_nc_u64 s[2:3], s[18:19], s[28:29]
	s_wait_xcnt 0x0
	s_add_nc_u64 s[4:5], s[20:21], s[28:29]
	s_mov_b32 s27, -1
	s_cmp_ge_i32 s26, s50
	s_mov_b32 s30, -1
                                        ; implicit-def: $sgpr52
	s_cbranch_scc1 .LBB3_8
	s_branch .LBB3_7
.LBB3_6:                                ;   in Loop: Header=BB3_8 Depth=2
	s_mov_b32 s26, s52
	s_mov_b32 s27, -1
	s_cmp_ge_i32 s26, s50
	s_mov_b32 s30, -1
                                        ; implicit-def: $sgpr52
	s_cbranch_scc1 .LBB3_8
.LBB3_7:                                ;   in Loop: Header=BB3_3 Depth=1
	s_clause 0x1
	global_load_b64 v[2:3], v10, s[4:5] offset:-4
	global_load_b32 v4, v10, s[2:3] offset:4
	s_wait_xcnt 0x0
	s_add_nc_u64 s[2:3], s[2:3], 4
	s_add_nc_u64 s[4:5], s[4:5], 4
	s_wait_loadcnt 0x1
	v_readfirstlane_b32 s27, v3
	s_bitset0_b32 s27, 31
	s_delay_alu instid0(SALU_CYCLE_1) | instskip(SKIP_1) | instid1(SALU_CYCLE_2)
	s_mul_f32 s30, s27, 0x4f800000
	s_cmp_lt_f32 s27, 0xf800000
	s_cselect_b32 s30, s30, s27
	s_delay_alu instid0(SALU_CYCLE_1) | instskip(SKIP_1) | instid1(TRANS32_DEP_1)
	v_s_sqrt_f32 s31, s30
	s_mov_b32 s35, s30
	s_add_co_i32 s34, s31, -1
	s_delay_alu instid0(SALU_CYCLE_1) | instskip(NEXT) | instid1(SALU_CYCLE_1)
	s_xor_b32 s36, s34, 0x80000000
	s_fmac_f32 s35, s36, s31
	s_mov_b32 s36, s30
	s_delay_alu instid0(SALU_CYCLE_2) | instskip(SKIP_2) | instid1(SALU_CYCLE_1)
	s_cmp_le_f32 s35, 0
	s_cselect_b32 s34, s34, s31
	s_add_co_i32 s35, s31, 1
	s_xor_b32 s37, s35, 0x80000000
	s_delay_alu instid0(SALU_CYCLE_1)
	s_fmac_f32 s36, s37, s31
	v_readfirstlane_b32 s31, v2
	s_wait_loadcnt 0x0
	v_and_b32_e32 v2, 0x7fffffff, v4
	s_cmp_gt_f32 s36, 0
	s_cselect_b32 s34, s35, s34
	s_cmp_lt_f32 s27, 0xf800000
	s_mul_f32 s27, s34, 0x37800000
	s_delay_alu instid0(SALU_CYCLE_3) | instskip(SKIP_1) | instid1(SALU_CYCLE_1)
	s_cselect_b32 s27, s27, s34
	s_bitset0_b32 s31, 31
	s_mul_f32 s34, s31, 0x4f800000
	s_cmp_lt_f32 s31, 0xf800000
	s_delay_alu instid0(SALU_CYCLE_2) | instskip(NEXT) | instid1(SALU_CYCLE_1)
	s_cselect_b32 s34, s34, s31
	v_s_sqrt_f32 s35, s34
	s_mov_b32 s37, s34
	s_delay_alu instid0(TRANS32_DEP_1) | instskip(NEXT) | instid1(SALU_CYCLE_1)
	s_add_co_i32 s36, s35, -1
	s_xor_b32 s38, s36, 0x80000000
	s_delay_alu instid0(SALU_CYCLE_1) | instskip(SKIP_1) | instid1(SALU_CYCLE_2)
	s_fmac_f32 s37, s38, s35
	s_mov_b32 s38, s34
	s_cmp_le_f32 s37, 0
	s_cselect_b32 s36, s36, s35
	s_add_co_i32 s37, s35, 1
	s_delay_alu instid0(SALU_CYCLE_1) | instskip(NEXT) | instid1(SALU_CYCLE_1)
	s_xor_b32 s39, s37, 0x80000000
	s_fmac_f32 s38, s39, s35
	v_cmp_class_f32_e64 s35, s34, 0x260
	s_delay_alu instid0(SALU_CYCLE_2) | instskip(SKIP_4) | instid1(SALU_CYCLE_2)
	s_cmp_gt_f32 s38, 0
	s_cselect_b32 s36, s37, s36
	s_cmp_lt_f32 s31, 0xf800000
	s_mul_f32 s31, s36, 0x37800000
	v_cmp_class_f32_e64 s37, s30, 0x260
	s_cselect_b32 s31, s31, s36
	s_and_b32 s35, s35, exec_lo
	s_cselect_b32 s31, s34, s31
	s_add_co_i32 s52, s26, 1
	s_and_b32 s34, s37, exec_lo
	s_cselect_b32 s27, s30, s27
	s_delay_alu instid0(SALU_CYCLE_1) | instskip(NEXT) | instid1(SALU_CYCLE_3)
	s_mul_f32 s27, s31, s27
	s_mul_f32 s27, s13, s27
	s_delay_alu instid0(SALU_CYCLE_3)
	v_cmp_ge_f32_e64 s30, s27, v2
	s_mov_b32 s27, 0
.LBB3_8:                                ;   Parent Loop BB3_3 Depth=1
                                        ; =>  This Inner Loop Header: Depth=2
	s_and_not1_b32 vcc_lo, exec_lo, s30
	s_cbranch_vccnz .LBB3_6
; %bb.9:                                ;   in Loop: Header=BB3_3 Depth=1
	s_and_not1_b32 vcc_lo, exec_lo, s27
	s_mov_b32 s4, -1
	s_cbranch_vccz .LBB3_11
; %bb.10:                               ;   in Loop: Header=BB3_3 Depth=1
	global_store_b32 v10, v10, s[2:3]
	s_cbranch_execnz .LBB3_13
	s_branch .LBB3_12
.LBB3_11:                               ;   in Loop: Header=BB3_3 Depth=1
	s_and_not1_b32 vcc_lo, exec_lo, s4
	s_cbranch_vccnz .LBB3_13
.LBB3_12:                               ;   in Loop: Header=BB3_3 Depth=1
	s_max_i32 s26, s24, s50
	s_delay_alu instid0(SALU_CYCLE_1)
	s_add_co_i32 s52, s26, 1
.LBB3_13:                               ;   in Loop: Header=BB3_3 Depth=1
	s_mov_b32 s35, -1
	s_cmp_lg_u32 s26, s24
	s_wait_xcnt 0x0
	s_mov_b32 s2, -1
                                        ; implicit-def: $sgpr30_sgpr31
                                        ; implicit-def: $vgpr2
                                        ; implicit-def: $sgpr34
                                        ; implicit-def: $sgpr54
	s_cbranch_scc0 .LBB3_21
; %bb.14:                               ;   in Loop: Header=BB3_3 Depth=1
	v_mov_b32_e32 v2, s26
	global_load_b32 v2, v2, s[6:7] scale_offset
	s_wait_loadcnt 0x0
	v_readfirstlane_b32 s2, v2
	s_and_b32 s54, s2, 0x7fffffff
	s_cmp_gt_i32 s26, s24
	s_cselect_b32 s34, -1, 0
	s_cmp_le_i32 s26, s24
	s_cbranch_scc1 .LBB3_25
; %bb.15:                               ;   in Loop: Header=BB3_3 Depth=1
	s_sub_co_i32 s4, s26, s24
	s_mov_b32 s27, -1
	s_cmp_lt_u32 s4, 2
	s_cbranch_scc1 .LBB3_22
; %bb.16:                               ;   in Loop: Header=BB3_3 Depth=1
	v_dual_mov_b32 v5, s54 :: v_dual_mov_b32 v6, s54
	s_and_b32 s3, s4, -2
	s_mov_b32 s30, 0
	s_add_co_i32 s27, s3, -2
.LBB3_17:                               ;   Parent Loop BB3_3 Depth=1
                                        ; =>  This Inner Loop Header: Depth=2
	s_mov_b32 s5, s30
	s_add_co_i32 s30, s24, s30
	v_dual_mov_b32 v3, v6 :: v_dual_mov_b32 v4, v5
	s_ashr_i32 s31, s30, 31
	s_delay_alu instid0(SALU_CYCLE_1) | instskip(NEXT) | instid1(SALU_CYCLE_1)
	s_lshl_b64 s[30:31], s[30:31], 2
	s_add_nc_u64 s[36:37], s[10:11], s[30:31]
	s_add_nc_u64 s[30:31], s[6:7], s[30:31]
	s_clause 0x1
	global_load_b64 v[8:9], v10, s[36:37]
	global_load_b64 v[12:13], v10, s[30:31]
	s_wait_xcnt 0x0
	s_add_co_i32 s30, s5, 2
	s_cmp_lg_u32 s27, s5
	s_cselect_b32 s31, -1, 0
	s_wait_loadcnt 0x1
	v_max_num_f32_e64 v6, |v9|, |v9|
	s_wait_loadcnt 0x0
	v_max_num_f32_e64 v7, |v13|, |v13|
	v_max_num_f32_e64 v8, |v8|, |v8|
	;; [unrolled: 1-line block ×3, first 2 shown]
	v_max_num_f32_e32 v5, v3, v3
	s_delay_alu instid0(VALU_DEP_2) | instskip(NEXT) | instid1(VALU_DEP_1)
	v_dual_max_num_f32 v6, v7, v6 :: v_dual_max_num_f32 v7, v9, v8
	v_cmp_u_f32_e32 vcc_lo, v6, v6
	v_cndmask_b32_e64 v8, 0, 1, vcc_lo
	s_delay_alu instid0(VALU_DEP_3) | instskip(NEXT) | instid1(VALU_DEP_2)
	v_cmp_u_f32_e32 vcc_lo, v7, v7
	v_readfirstlane_b32 s2, v8
	v_cndmask_b32_e64 v9, 0, 1, vcc_lo
	v_dual_max_num_f32 v8, v4, v4 :: v_dual_max_num_f32 v6, v5, v6
	s_lshl_b32 s2, s2, 1
	s_delay_alu instid0(VALU_DEP_2) | instskip(NEXT) | instid1(VALU_DEP_2)
	v_readfirstlane_b32 s36, v9
	v_max_num_f32_e32 v5, v8, v7
	s_or_b32 s2, s36, s2
	s_delay_alu instid0(SALU_CYCLE_1) | instskip(NEXT) | instid1(SALU_CYCLE_1)
	s_and_b32 s36, s2, 3
	s_cmp_lg_u32 s36, 0
	s_cselect_b32 s2, -1, 0
	s_cmp_eq_u32 s36, 0
	s_cselect_b32 s36, -1, 0
	s_delay_alu instid0(SALU_CYCLE_1) | instskip(NEXT) | instid1(SALU_CYCLE_1)
	s_and_b32 s31, s36, s31
	s_and_b32 vcc_lo, exec_lo, s31
	s_cbranch_vccnz .LBB3_17
; %bb.18:                               ;   in Loop: Header=BB3_3 Depth=1
	v_dual_cndmask_b32 v4, v5, v4, s2 :: v_dual_cndmask_b32 v3, v6, v3, s2
	s_xor_b32 s27, s2, -1
	s_cmp_eq_u32 s4, s3
                                        ; implicit-def: $sgpr30_sgpr31
	s_cselect_b32 s4, -1, 0
	s_delay_alu instid0(VALU_DEP_1) | instskip(SKIP_3) | instid1(VALU_DEP_1)
	v_dual_max_num_f32 v4, v4, v4 :: v_dual_max_num_f32 v3, v3, v3
	s_and_b32 s4, s4, s27
	s_mov_b32 s27, 0
	s_and_b32 vcc_lo, exec_lo, s4
	v_readfirstlane_b32 s36, v4
	v_readfirstlane_b32 s37, v3
                                        ; implicit-def: $sgpr4
	s_cbranch_vccnz .LBB3_20
; %bb.19:                               ;   in Loop: Header=BB3_3 Depth=1
	s_and_b32 s2, s2, exec_lo
	s_cselect_b32 s2, s5, s3
	s_mov_b32 s27, -1
	s_add_co_i32 s4, s24, s2
	s_delay_alu instid0(SALU_CYCLE_1) | instskip(NEXT) | instid1(SALU_CYCLE_1)
	s_ashr_i32 s5, s4, 31
	s_lshl_b64 s[30:31], s[4:5], 2
.LBB3_20:                               ;   in Loop: Header=BB3_3 Depth=1
	s_max_num_f32 s54, s36, s37
	s_and_b32 vcc_lo, exec_lo, s27
	s_cbranch_vccnz .LBB3_23
	s_branch .LBB3_25
.LBB3_21:                               ;   in Loop: Header=BB3_3 Depth=1
	s_and_b32 vcc_lo, exec_lo, s2
	s_mov_b32 s2, -1
	s_cbranch_vccz .LBB3_2
	s_branch .LBB3_26
.LBB3_22:                               ;   in Loop: Header=BB3_3 Depth=1
	s_mov_b32 s4, s24
	s_mov_b64 s[30:31], s[28:29]
	s_and_b32 vcc_lo, exec_lo, s27
	s_cbranch_vccz .LBB3_25
.LBB3_23:                               ;   in Loop: Header=BB3_3 Depth=1
	s_add_nc_u64 s[2:3], s[6:7], s[30:31]
	s_add_nc_u64 s[30:31], s[8:9], s[30:31]
.LBB3_24:                               ;   Parent Loop BB3_3 Depth=1
                                        ; =>  This Inner Loop Header: Depth=2
	s_clause 0x1
	global_load_b32 v3, v10, s[2:3]
	global_load_b32 v4, v10, s[30:31]
	s_add_co_i32 s4, s4, 1
	s_wait_xcnt 0x1
	s_add_nc_u64 s[2:3], s[2:3], 4
	s_cmp_lt_i32 s4, s26
	s_wait_xcnt 0x0
	s_add_nc_u64 s[30:31], s[30:31], 4
	s_wait_loadcnt 0x0
	v_max3_num_f32 v3, s54, |v3|, |v4|
	s_delay_alu instid0(VALU_DEP_1)
	v_readfirstlane_b32 s54, v3
	s_cbranch_scc1 .LBB3_24
.LBB3_25:                               ;   in Loop: Header=BB3_3 Depth=1
	s_ashr_i32 s27, s26, 31
	s_delay_alu instid0(SALU_CYCLE_1) | instskip(SKIP_3) | instid1(SALU_CYCLE_1)
	s_lshl_b64 s[2:3], s[26:27], 2
	s_cmp_eq_f32 s54, 0
	s_add_nc_u64 s[30:31], s[6:7], s[2:3]
	s_cselect_b32 s2, -1, 0
	s_and_b32 vcc_lo, exec_lo, s2
	s_mov_b32 s2, -1
	s_cbranch_vccz .LBB3_2
.LBB3_26:                               ;   in Loop: Header=BB3_3 Depth=1
	s_cmp_ge_i32 s52, s33
	s_mov_b32 s35, 0
	s_cselect_b32 s2, -1, 0
	s_branch .LBB3_2
.LBB3_27:                               ;   in Loop: Header=BB3_3 Depth=1
	s_and_b32 vcc_lo, exec_lo, s35
	s_mov_b32 s2, -1
                                        ; implicit-def: $sgpr55
	s_cbranch_vccz .LBB3_111
; %bb.28:                               ;   in Loop: Header=BB3_3 Depth=1
	s_cmp_gt_f32 s54, s15
	s_cselect_b32 s27, -1, 0
	s_cmp_ngt_f32 s54, s15
	s_cbranch_scc0 .LBB3_34
; %bb.29:                               ;   in Loop: Header=BB3_3 Depth=1
	s_cmp_lt_f32 s54, s14
	s_cbranch_scc0 .LBB3_35
; %bb.30:                               ;   in Loop: Header=BB3_3 Depth=1
	v_div_scale_f32 v3, null, s14, s14, s54
	v_div_scale_f32 v6, vcc_lo, s54, s14, s54
	s_mov_b32 s2, 0
	v_rcp_f32_e32 v4, v3
	v_nop
	v_xor_b32_e32 v3, 0x80000000, v3
	s_delay_alu instid0(TRANS32_DEP_1) | instid1(VALU_DEP_1)
	v_fma_f32 v5, v3, v4, 1.0
	s_delay_alu instid0(VALU_DEP_1) | instskip(NEXT) | instid1(VALU_DEP_1)
	v_fmac_f32_e32 v4, v5, v4
	v_mul_f32_e32 v5, v6, v4
	s_delay_alu instid0(VALU_DEP_1) | instskip(NEXT) | instid1(VALU_DEP_1)
	v_fma_f32 v7, v3, v5, v6
	v_fmac_f32_e32 v5, v7, v4
	s_delay_alu instid0(VALU_DEP_1) | instskip(NEXT) | instid1(VALU_DEP_1)
	v_fmac_f32_e32 v6, v3, v5
	v_div_fmas_f32 v3, v6, v4, v5
	s_and_b32 vcc_lo, exec_lo, s34
	s_delay_alu instid0(VALU_DEP_1) | instskip(NEXT) | instid1(VALU_DEP_1)
	v_div_fixup_f32 v3, v3, s14, s54
	v_mul_f32_e32 v4, v2, v3
	global_store_b32 v10, v4, s[30:31]
	s_cbranch_vccz .LBB3_35
; %bb.31:                               ;   in Loop: Header=BB3_3 Depth=1
	s_add_nc_u64 s[2:3], s[6:7], s[28:29]
	s_add_nc_u64 s[4:5], s[8:9], s[28:29]
	s_mov_b32 s35, s24
.LBB3_32:                               ;   Parent Loop BB3_3 Depth=1
                                        ; =>  This Inner Loop Header: Depth=2
	global_load_b32 v4, v10, s[2:3]
	s_add_co_i32 s35, s35, 1
	s_delay_alu instid0(SALU_CYCLE_1)
	s_cmp_lt_i32 s35, s26
	s_wait_loadcnt 0x0
	v_mul_f32_e32 v4, v3, v4
	s_clause 0x1
	global_store_b32 v10, v4, s[2:3]
	global_load_b32 v4, v10, s[4:5]
	s_add_nc_u64 s[2:3], s[2:3], 4
	s_wait_loadcnt 0x0
	v_mul_f32_e32 v4, v3, v4
	global_store_b32 v10, v4, s[4:5]
	s_wait_xcnt 0x0
	s_add_nc_u64 s[4:5], s[4:5], 4
	s_cbranch_scc1 .LBB3_32
; %bb.33:                               ;   in Loop: Header=BB3_3 Depth=1
	s_mov_b32 s2, -1
	s_branch .LBB3_40
.LBB3_34:                               ;   in Loop: Header=BB3_3 Depth=1
	s_mov_b32 s2, 0
	s_cbranch_execnz .LBB3_36
	s_branch .LBB3_40
.LBB3_35:                               ;   in Loop: Header=BB3_3 Depth=1
	s_branch .LBB3_40
.LBB3_36:                               ;   in Loop: Header=BB3_3 Depth=1
	v_div_scale_f32 v3, null, s15, s15, s54
	v_div_scale_f32 v6, vcc_lo, s54, s15, s54
	s_wait_xcnt 0x0
	s_delay_alu instid0(VALU_DEP_2)
	v_rcp_f32_e32 v4, v3
	v_nop
	v_xor_b32_e32 v3, 0x80000000, v3
	s_delay_alu instid0(TRANS32_DEP_1) | instid1(VALU_DEP_1)
	v_fma_f32 v5, v3, v4, 1.0
	s_delay_alu instid0(VALU_DEP_1) | instskip(NEXT) | instid1(VALU_DEP_1)
	v_fmac_f32_e32 v4, v5, v4
	v_mul_f32_e32 v5, v6, v4
	s_delay_alu instid0(VALU_DEP_1) | instskip(NEXT) | instid1(VALU_DEP_1)
	v_fma_f32 v7, v3, v5, v6
	v_fmac_f32_e32 v5, v7, v4
	s_delay_alu instid0(VALU_DEP_1) | instskip(NEXT) | instid1(VALU_DEP_1)
	v_fmac_f32_e32 v6, v3, v5
	v_div_fmas_f32 v3, v6, v4, v5
	s_and_b32 vcc_lo, exec_lo, s34
	s_delay_alu instid0(VALU_DEP_1) | instskip(NEXT) | instid1(VALU_DEP_1)
	v_div_fixup_f32 v3, v3, s15, s54
	v_mul_f32_e32 v2, v2, v3
	global_store_b32 v10, v2, s[30:31]
	s_cbranch_vccz .LBB3_40
; %bb.37:                               ;   in Loop: Header=BB3_3 Depth=1
	s_add_nc_u64 s[2:3], s[6:7], s[28:29]
	s_add_nc_u64 s[4:5], s[8:9], s[28:29]
	s_mov_b32 s35, s24
.LBB3_38:                               ;   Parent Loop BB3_3 Depth=1
                                        ; =>  This Inner Loop Header: Depth=2
	global_load_b32 v2, v10, s[2:3]
	s_add_co_i32 s35, s35, 1
	s_delay_alu instid0(SALU_CYCLE_1)
	s_cmp_ge_i32 s35, s26
	s_wait_loadcnt 0x0
	v_mul_f32_e32 v2, v3, v2
	s_clause 0x1
	global_store_b32 v10, v2, s[2:3]
	global_load_b32 v2, v10, s[4:5]
	s_add_nc_u64 s[2:3], s[2:3], 4
	s_wait_loadcnt 0x0
	v_mul_f32_e32 v2, v3, v2
	global_store_b32 v10, v2, s[4:5]
	s_wait_xcnt 0x0
	s_add_nc_u64 s[4:5], s[4:5], 4
	s_cbranch_scc0 .LBB3_38
; %bb.39:                               ;   in Loop: Header=BB3_3 Depth=1
	s_mov_b32 s2, -1
.LBB3_40:                               ;   in Loop: Header=BB3_3 Depth=1
	s_wait_xcnt 0x0
	v_cndmask_b32_e64 v2, 0, 1, s34
	s_and_b32 vcc_lo, exec_lo, s2
	s_delay_alu instid0(VALU_DEP_1)
	v_cmp_ne_u32_e64 s2, 1, v2
	s_cbranch_vccz .LBB3_50
; %bb.41:                               ;   in Loop: Header=BB3_3 Depth=1
	s_and_b32 vcc_lo, exec_lo, s2
	s_cbranch_vccnz .LBB3_50
; %bb.42:                               ;   in Loop: Header=BB3_3 Depth=1
	s_add_co_i32 s3, s24, 1
	s_mov_b32 s5, -1
	s_max_i32 s3, s26, s3
	s_mov_b32 s4, s24
	s_sub_co_i32 s3, s3, s24
	s_mov_b64 s[34:35], s[28:29]
	s_cmp_lt_u32 s3, 2
	s_cbranch_scc1 .LBB3_47
; %bb.43:                               ;   in Loop: Header=BB3_3 Depth=1
	s_and_b32 s36, s3, -2
	s_mov_b32 s4, s24
	s_mov_b32 s34, s36
.LBB3_44:                               ;   Parent Loop BB3_3 Depth=1
                                        ; =>  This Inner Loop Header: Depth=2
	s_ashr_i32 s5, s4, 31
	s_add_co_i32 s34, s34, -2
	s_wait_xcnt 0x0
	s_lshl_b64 s[38:39], s[4:5], 2
	s_add_co_i32 s4, s4, 2
	s_add_nc_u64 s[38:39], s[10:11], s[38:39]
	s_cmp_lg_u32 s34, 0
	global_load_b64 v[2:3], v10, s[38:39]
	s_wait_loadcnt 0x0
	v_pk_mul_f32 v[2:3], v[2:3], v[2:3]
	global_store_b64 v10, v[2:3], s[38:39]
	s_cbranch_scc1 .LBB3_44
; %bb.45:                               ;   in Loop: Header=BB3_3 Depth=1
	s_cmp_eq_u32 s3, s36
	s_mov_b32 s5, 0
                                        ; implicit-def: $sgpr4
                                        ; implicit-def: $sgpr34_sgpr35
	s_cbranch_scc1 .LBB3_47
; %bb.46:                               ;   in Loop: Header=BB3_3 Depth=1
	s_add_co_i32 s4, s24, s36
	s_delay_alu instid0(SALU_CYCLE_1) | instskip(NEXT) | instid1(SALU_CYCLE_1)
	s_ashr_i32 s5, s4, 31
	s_lshl_b64 s[34:35], s[4:5], 2
	s_mov_b32 s5, -1
.LBB3_47:                               ;   in Loop: Header=BB3_3 Depth=1
	s_delay_alu instid0(SALU_CYCLE_1)
	s_and_b32 vcc_lo, exec_lo, s5
	s_cbranch_vccz .LBB3_50
; %bb.48:                               ;   in Loop: Header=BB3_3 Depth=1
	s_add_nc_u64 s[34:35], s[8:9], s[34:35]
.LBB3_49:                               ;   Parent Loop BB3_3 Depth=1
                                        ; =>  This Inner Loop Header: Depth=2
	global_load_b32 v2, v10, s[34:35]
	s_add_co_i32 s4, s4, 1
	s_delay_alu instid0(SALU_CYCLE_1)
	s_cmp_lt_i32 s4, s26
	s_wait_loadcnt 0x0
	v_mul_f32_e32 v2, v2, v2
	global_store_b32 v10, v2, s[34:35]
	s_wait_xcnt 0x0
	s_add_nc_u64 s[34:35], s[34:35], 4
	s_cbranch_scc1 .LBB3_49
.LBB3_50:                               ;   in Loop: Header=BB3_3 Depth=1
	s_lshl_b64 s[4:5], s[24:25], 2
                                        ; implicit-def: $sgpr55
	s_delay_alu instid0(SALU_CYCLE_1)
	s_add_nc_u64 s[4:5], s[6:7], s[4:5]
	s_clause 0x1
	global_load_b32 v2, v10, s[30:31]
	global_load_b32 v3, v10, s[4:5]
	s_wait_loadcnt 0x1
	v_readfirstlane_b32 s3, v2
	s_wait_loadcnt 0x0
	v_readfirstlane_b32 s4, v3
	s_bitset0_b32 s3, 31
	s_bitset0_b32 s4, 31
	s_delay_alu instid0(SALU_CYCLE_1)
	s_cmp_lt_f32 s3, s4
	s_mov_b32 s4, -1
	s_cselect_b32 s25, s24, s26
	s_cselect_b32 s34, s26, s24
	s_cmp_lt_i32 s53, s12
	s_cselect_b32 s3, -1, 0
	s_cmp_lt_i32 s25, s34
	v_cndmask_b32_e64 v2, 0, 1, s3
	s_delay_alu instid0(VALU_DEP_1)
	v_cmp_ne_u32_e64 s3, 1, v2
	s_cbranch_scc1 .LBB3_100
; %bb.51:                               ;   in Loop: Header=BB3_3 Depth=1
	s_and_b32 vcc_lo, exec_lo, s3
	s_mov_b32 s55, s53
	s_mov_b32 s36, s34
	s_cbranch_vccz .LBB3_56
.LBB3_52:                               ;   in Loop: Header=BB3_3 Depth=1
	s_cbranch_execz .LBB3_101
.LBB3_53:                               ;   in Loop: Header=BB3_3 Depth=1
	s_and_not1_b32 vcc_lo, exec_lo, s27
	s_cbranch_vccz .LBB3_103
	s_branch .LBB3_106
.LBB3_54:                               ;   in Loop: Header=BB3_56 Depth=2
	s_cmp_gt_i32 s36, s25
	s_cselect_b32 s4, -1, 0
	s_cmp_ge_i32 s55, s12
	s_cselect_b32 s5, -1, 0
	s_delay_alu instid0(SALU_CYCLE_1)
	s_or_b32 s5, s4, s5
.LBB3_55:                               ;   in Loop: Header=BB3_56 Depth=2
	s_delay_alu instid0(SALU_CYCLE_1)
	s_and_not1_b32 vcc_lo, exec_lo, s5
	s_cbranch_vccz .LBB3_52
.LBB3_56:                               ;   Parent Loop BB3_3 Depth=1
                                        ; =>  This Loop Header: Depth=2
                                        ;       Child Loop BB3_59 Depth 3
                                        ;       Child Loop BB3_71 Depth 3
	s_ashr_i32 s37, s36, 31
	s_wait_xcnt 0x1
	s_max_i32 s38, s25, s36
	s_wait_xcnt 0x0
	s_lshl_b64 s[42:43], s[36:37], 2
	s_mov_b32 s35, s36
	s_add_nc_u64 s[4:5], s[18:19], s[42:43]
	s_add_nc_u64 s[40:41], s[20:21], s[42:43]
	s_mov_b32 s37, -1
	s_cmp_ge_i32 s35, s25
	s_mov_b32 s44, -1
                                        ; implicit-def: $sgpr39
	s_cbranch_scc1 .LBB3_59
	s_branch .LBB3_58
.LBB3_57:                               ;   in Loop: Header=BB3_59 Depth=3
	s_mov_b32 s35, s39
	s_mov_b32 s37, -1
	s_cmp_ge_i32 s35, s25
	s_mov_b32 s44, -1
                                        ; implicit-def: $sgpr39
	s_cbranch_scc1 .LBB3_59
.LBB3_58:                               ;   in Loop: Header=BB3_56 Depth=2
	s_clause 0x1
	global_load_b64 v[2:3], v10, s[40:41] offset:-4
	global_load_b32 v4, v10, s[4:5] offset:4
	s_wait_xcnt 0x0
	s_add_nc_u64 s[4:5], s[4:5], 4
	s_add_co_i32 s39, s35, 1
	s_add_nc_u64 s[40:41], s[40:41], 4
	s_mov_b32 s37, 0
	s_wait_loadcnt 0x1
	v_mul_f32_e32 v2, v2, v3
	s_wait_loadcnt 0x0
	v_and_b32_e32 v3, 0x7fffffff, v4
	s_delay_alu instid0(VALU_DEP_2) | instskip(NEXT) | instid1(VALU_DEP_1)
	v_and_b32_e32 v2, 0x7fffffff, v2
	v_mul_f32_e32 v2, s51, v2
	s_delay_alu instid0(VALU_DEP_1)
	v_cmp_le_f32_e64 s44, v3, v2
.LBB3_59:                               ;   Parent Loop BB3_3 Depth=1
                                        ;     Parent Loop BB3_56 Depth=2
                                        ; =>    This Inner Loop Header: Depth=3
	s_delay_alu instid0(VALU_DEP_1)
	s_and_not1_b32 vcc_lo, exec_lo, s44
	s_cbranch_vccnz .LBB3_57
; %bb.60:                               ;   in Loop: Header=BB3_56 Depth=2
	s_and_not1_b32 vcc_lo, exec_lo, s37
	s_cbranch_vccz .LBB3_62
; %bb.61:                               ;   in Loop: Header=BB3_56 Depth=2
	s_mov_b32 s38, s35
	global_store_b32 v10, v10, s[4:5]
.LBB3_62:                               ;   in Loop: Header=BB3_56 Depth=2
	s_wait_xcnt 0x0
	s_add_co_i32 s4, s36, 1
	s_cmp_eq_u32 s38, s36
	s_mov_b32 s5, -1
	s_cbranch_scc1 .LBB3_77
; %bb.63:                               ;   in Loop: Header=BB3_56 Depth=2
	s_add_nc_u64 s[40:41], s[6:7], s[42:43]
	s_cmp_lg_u32 s38, s4
	global_load_b32 v2, v10, s[40:41]
	s_wait_loadcnt 0x0
	v_readfirstlane_b32 s35, v2
	s_cbranch_scc0 .LBB3_78
; %bb.64:                               ;   in Loop: Header=BB3_56 Depth=2
	s_mov_b32 s37, 0
	s_cmp_lg_u32 s55, s12
	s_mov_b32 s39, s12
	s_mov_b32 s4, 0
	s_cbranch_scc0 .LBB3_79
; %bb.65:                               ;   in Loop: Header=BB3_56 Depth=2
	s_add_nc_u64 s[44:45], s[10:11], s[42:43]
	s_clause 0x1
	global_load_b32 v2, v10, s[44:45]
	global_load_b32 v3, v10, s[40:41] offset:4
	s_wait_loadcnt 0x1
	v_readfirstlane_b32 s4, v2
	v_cmp_gt_f32_e32 vcc_lo, 0xf800000, v2
	s_mul_f32 s39, s4, 0x4f800000
	s_cmp_lt_f32 s4, 0xf800000
	s_delay_alu instid0(SALU_CYCLE_2) | instskip(NEXT) | instid1(SALU_CYCLE_1)
	s_cselect_b32 s4, s39, s4
	v_s_sqrt_f32 s39, s4
	s_mov_b32 s47, s4
	s_delay_alu instid0(TRANS32_DEP_1) | instskip(NEXT) | instid1(SALU_CYCLE_1)
	s_add_co_i32 s46, s39, -1
	s_xor_b32 s48, s46, 0x80000000
	s_delay_alu instid0(SALU_CYCLE_1) | instskip(SKIP_1) | instid1(SALU_CYCLE_2)
	s_fmac_f32 s47, s48, s39
	s_mov_b32 s48, s4
	s_cmp_le_f32 s47, 0
	s_cselect_b32 s46, s46, s39
	s_add_co_i32 s47, s39, 1
	s_delay_alu instid0(SALU_CYCLE_1) | instskip(NEXT) | instid1(SALU_CYCLE_1)
	s_xor_b32 s49, s47, 0x80000000
	s_fmac_f32 s48, s49, s39
	s_delay_alu instid0(SALU_CYCLE_3) | instskip(SKIP_1) | instid1(SALU_CYCLE_1)
	s_cmp_gt_f32 s48, 0
	s_cselect_b32 s39, s47, s46
	s_mul_f32 s46, s39, 0x37800000
	s_delay_alu instid0(SALU_CYCLE_3) | instskip(SKIP_3) | instid1(VALU_DEP_1)
	v_dual_mov_b32 v4, s38 :: v_dual_mov_b32 v5, s46
	global_load_b32 v4, v4, s[6:7] scale_offset
	v_cndmask_b32_e32 v2, s39, v5, vcc_lo
	v_cmp_class_f32_e64 s39, s4, 0x260
	v_cndmask_b32_e64 v2, v2, s4, s39
	s_wait_loadcnt 0x1
	s_delay_alu instid0(VALU_DEP_1) | instskip(NEXT) | instid1(VALU_DEP_1)
	v_dual_subrev_f32 v3, s35, v3 :: v_dual_add_f32 v5, v2, v2
	v_div_scale_f32 v6, null, v5, v5, v3
	v_div_scale_f32 v9, vcc_lo, v3, v5, v3
	s_delay_alu instid0(VALU_DEP_2)
	v_rcp_f32_e32 v7, v6
	v_nop
	v_xor_b32_e32 v6, 0x80000000, v6
	s_delay_alu instid0(TRANS32_DEP_1) | instid1(VALU_DEP_1)
	v_fma_f32 v8, v6, v7, 1.0
	s_delay_alu instid0(VALU_DEP_1) | instskip(NEXT) | instid1(VALU_DEP_1)
	v_fmac_f32_e32 v7, v8, v7
	v_mul_f32_e32 v8, v9, v7
	s_delay_alu instid0(VALU_DEP_1) | instskip(NEXT) | instid1(VALU_DEP_1)
	v_fma_f32 v11, v6, v8, v9
	v_fmac_f32_e32 v8, v11, v7
	s_delay_alu instid0(VALU_DEP_1) | instskip(NEXT) | instid1(VALU_DEP_1)
	v_fmac_f32_e32 v9, v6, v8
	v_div_fmas_f32 v6, v9, v7, v8
	s_delay_alu instid0(VALU_DEP_1) | instskip(NEXT) | instid1(VALU_DEP_1)
	v_div_fixup_f32 v3, v6, v5, v3
	v_readfirstlane_b32 s4, v3
	v_cmp_nle_f32_e32 vcc_lo, 0, v3
	s_fmaak_f32 s4, s4, s4, 0x3f800000
	s_delay_alu instid0(SALU_CYCLE_3) | instskip(SKIP_1) | instid1(SALU_CYCLE_2)
	s_mul_f32 s39, s4, 0x4f800000
	s_cmp_lt_f32 s4, 0xf800000
	s_cselect_b32 s39, s39, s4
	s_delay_alu instid0(SALU_CYCLE_1) | instskip(SKIP_1) | instid1(TRANS32_DEP_1)
	v_s_sqrt_f32 s46, s39
	s_mov_b32 s48, s39
	s_add_co_i32 s47, s46, -1
	s_delay_alu instid0(SALU_CYCLE_1) | instskip(NEXT) | instid1(SALU_CYCLE_1)
	s_xor_b32 s49, s47, 0x80000000
	s_fmac_f32 s48, s49, s46
	s_mov_b32 s49, s39
	s_delay_alu instid0(SALU_CYCLE_2) | instskip(SKIP_2) | instid1(SALU_CYCLE_1)
	s_cmp_le_f32 s48, 0
	s_cselect_b32 s47, s47, s46
	s_add_co_i32 s48, s46, 1
	s_xor_b32 s56, s48, 0x80000000
	s_delay_alu instid0(SALU_CYCLE_1) | instskip(SKIP_1) | instid1(SALU_CYCLE_2)
	s_fmac_f32 s49, s56, s46
	v_cmp_class_f32_e64 s46, s39, 0x260
	s_cmp_gt_f32 s49, 0
	s_cselect_b32 s47, s48, s47
	s_cmp_lt_f32 s4, 0xf800000
	s_mul_f32 s4, s47, 0x37800000
	s_delay_alu instid0(SALU_CYCLE_3) | instskip(SKIP_2) | instid1(SALU_CYCLE_1)
	s_cselect_b32 s4, s4, s47
	s_and_b32 s46, s46, exec_lo
	s_cselect_b32 s4, s39, s4
	s_or_b32 s39, s4, 0x80000000
	s_bitset0_b32 s4, 31
	v_mov_b32_e32 v5, s39
	s_cmp_le_i32 s38, s36
	s_delay_alu instid0(VALU_DEP_1) | instskip(NEXT) | instid1(VALU_DEP_1)
	v_cndmask_b32_e32 v5, s4, v5, vcc_lo
	v_add_f32_e32 v3, v3, v5
	s_delay_alu instid0(VALU_DEP_1) | instskip(SKIP_1) | instid1(VALU_DEP_2)
	v_div_scale_f32 v5, null, v3, v3, v2
	v_div_scale_f32 v8, vcc_lo, v2, v3, v2
	v_rcp_f32_e32 v6, v5
	v_nop
	v_xor_b32_e32 v5, 0x80000000, v5
	s_delay_alu instid0(TRANS32_DEP_1) | instid1(VALU_DEP_1)
	v_fma_f32 v7, v5, v6, 1.0
	s_delay_alu instid0(VALU_DEP_1) | instskip(NEXT) | instid1(VALU_DEP_1)
	v_fmac_f32_e32 v6, v7, v6
	v_mul_f32_e32 v7, v8, v6
	s_delay_alu instid0(VALU_DEP_1) | instskip(NEXT) | instid1(VALU_DEP_1)
	v_fma_f32 v9, v5, v7, v8
	v_fmac_f32_e32 v7, v9, v6
	s_delay_alu instid0(VALU_DEP_1) | instskip(NEXT) | instid1(VALU_DEP_1)
	v_fmac_f32_e32 v8, v5, v7
	v_div_fmas_f32 v5, v8, v6, v7
	s_delay_alu instid0(VALU_DEP_1) | instskip(NEXT) | instid1(VALU_DEP_1)
	v_div_fixup_f32 v2, v5, v3, v2
	v_dual_mov_b32 v3, 0 :: v_dual_sub_f32 v11, s35, v2
	s_wait_loadcnt 0x0
	s_delay_alu instid0(VALU_DEP_1) | instskip(NEXT) | instid1(VALU_DEP_1)
	v_sub_f32_e32 v9, v4, v11
	v_mul_f32_e32 v2, v9, v9
	s_cbranch_scc1 .LBB3_85
; %bb.66:                               ;   in Loop: Header=BB3_56 Depth=2
	s_ashr_i32 s39, s38, 31
	s_delay_alu instid0(SALU_CYCLE_1) | instskip(NEXT) | instid1(SALU_CYCLE_1)
	s_lshl_b64 s[46:47], s[38:39], 2
	s_add_nc_u64 s[48:49], s[10:11], s[46:47]
	s_add_nc_u64 s[46:47], s[6:7], s[46:47]
	s_clause 0x1
	global_load_b32 v12, v10, s[48:49] offset:-4
	global_load_b32 v13, v10, s[46:47] offset:-4
	s_wait_loadcnt 0x1
	s_wait_xcnt 0x2
	v_add_f32_e32 v4, v2, v12
	s_delay_alu instid0(VALU_DEP_1) | instskip(NEXT) | instid1(VALU_DEP_1)
	v_div_scale_f32 v3, null, v4, v4, v12
	v_rcp_f32_e32 v6, v3
	v_nop
	v_xor_b32_e32 v3, 0x80000000, v3
	s_delay_alu instid0(TRANS32_DEP_1) | instid1(VALU_DEP_1)
	v_fma_f32 v8, v3, v6, 1.0
	s_delay_alu instid0(VALU_DEP_1) | instskip(SKIP_3) | instid1(VALU_DEP_3)
	v_fmac_f32_e32 v6, v8, v6
	v_div_scale_f32 v5, null, v4, v4, v2
	v_div_scale_f32 v15, vcc_lo, v12, v4, v12
	v_div_scale_f32 v8, s4, v2, v4, v2
	v_rcp_f32_e32 v7, v5
	v_nop
	v_xor_b32_e32 v5, 0x80000000, v5
	s_delay_alu instid0(TRANS32_DEP_1) | instid1(VALU_DEP_1)
	v_fma_f32 v14, v5, v7, 1.0
	s_delay_alu instid0(VALU_DEP_1) | instskip(NEXT) | instid1(VALU_DEP_1)
	v_dual_fmac_f32 v7, v14, v7 :: v_dual_mul_f32 v14, v15, v6
	v_dual_mul_f32 v16, v8, v7 :: v_dual_fma_f32 v17, v3, v14, v15
	s_delay_alu instid0(VALU_DEP_1) | instskip(NEXT) | instid1(VALU_DEP_1)
	v_fmac_f32_e32 v14, v17, v6
	v_dual_fma_f32 v18, v5, v16, v8 :: v_dual_fmac_f32 v15, v3, v14
	s_delay_alu instid0(VALU_DEP_1) | instskip(NEXT) | instid1(VALU_DEP_2)
	v_fmac_f32_e32 v16, v18, v7
	v_div_fmas_f32 v3, v15, v6, v14
	s_mov_b32 vcc_lo, s4
	s_delay_alu instid0(VALU_DEP_1) | instskip(NEXT) | instid1(VALU_DEP_3)
	v_div_fixup_f32 v3, v3, v4, v12
	v_fmac_f32_e32 v8, v5, v16
	s_delay_alu instid0(VALU_DEP_1) | instskip(SKIP_2) | instid1(VALU_DEP_2)
	v_div_fmas_f32 v5, v8, v7, v16
	s_wait_loadcnt 0x0
	v_sub_f32_e32 v8, v13, v11
	v_div_fixup_f32 v4, v5, v4, v2
	v_dual_mov_b32 v5, v3 :: v_dual_mul_f32 v2, v9, v3
	s_delay_alu instid0(VALU_DEP_2) | instskip(NEXT) | instid1(VALU_DEP_2)
	v_cmp_eq_f32_e32 vcc_lo, 0, v4
	v_pk_fma_f32 v[6:7], v[8:9], v[4:5], v[2:3] op_sel_hi:[1,1,0] neg_lo:[0,0,1] neg_hi:[0,0,1]
	s_delay_alu instid0(VALU_DEP_1) | instskip(NEXT) | instid1(VALU_DEP_1)
	v_sub_f32_e32 v2, v13, v6
	v_add_f32_e32 v2, v9, v2
	global_store_b32 v10, v2, s[46:47]
	s_cbranch_vccnz .LBB3_68
; %bb.67:                               ;   in Loop: Header=BB3_56 Depth=2
	s_wait_xcnt 0x0
	v_mul_f32_e32 v2, v6, v6
	s_delay_alu instid0(VALU_DEP_1) | instskip(NEXT) | instid1(VALU_DEP_1)
	v_div_scale_f32 v5, null, v4, v4, v2
	v_rcp_f32_e32 v7, v5
	v_nop
	v_xor_b32_e32 v5, 0x80000000, v5
	s_delay_alu instid0(TRANS32_DEP_1) | instid1(VALU_DEP_1)
	v_fma_f32 v8, v5, v7, 1.0
	s_delay_alu instid0(VALU_DEP_1) | instskip(SKIP_1) | instid1(VALU_DEP_1)
	v_fmac_f32_e32 v7, v8, v7
	v_div_scale_f32 v8, vcc_lo, v2, v4, v2
	v_mul_f32_e32 v9, v8, v7
	s_delay_alu instid0(VALU_DEP_1) | instskip(NEXT) | instid1(VALU_DEP_1)
	v_fma_f32 v12, v5, v9, v8
	v_fmac_f32_e32 v9, v12, v7
	s_delay_alu instid0(VALU_DEP_1) | instskip(NEXT) | instid1(VALU_DEP_1)
	v_fmac_f32_e32 v8, v5, v9
	v_div_fmas_f32 v5, v8, v7, v9
	s_delay_alu instid0(VALU_DEP_1)
	v_div_fixup_f32 v12, v5, v4, v2
.LBB3_68:                               ;   in Loop: Header=BB3_56 Depth=2
	s_add_co_i32 s4, s38, -1
	s_delay_alu instid0(SALU_CYCLE_1)
	s_cmp_le_i32 s4, s36
	s_cbranch_scc1 .LBB3_84
; %bb.69:                               ;   in Loop: Header=BB3_56 Depth=2
	s_wait_xcnt 0x0
	s_add_co_i32 s46, s38, -2
	v_mov_b32_e32 v9, v6
	s_ashr_i32 s47, s46, 31
	s_mov_b32 s39, -1
	s_lshl_b64 s[48:49], s[46:47], 2
	s_delay_alu instid0(SALU_CYCLE_1)
	s_add_nc_u64 s[46:47], s[20:21], s[48:49]
	s_add_nc_u64 s[48:49], s[22:23], s[48:49]
	global_load_b32 v5, v10, s[48:49] offset:-4
	s_cmp_eq_u32 s39, 0
	s_wait_loadcnt 0x0
	v_add_f32_e32 v2, v12, v5
	s_cbranch_scc1 .LBB3_71
.LBB3_70:                               ;   in Loop: Header=BB3_56 Depth=2
	s_delay_alu instid0(VALU_DEP_1)
	v_mul_f32_e32 v3, v3, v2
	global_store_b32 v10, v3, s[48:49]
.LBB3_71:                               ;   Parent Loop BB3_3 Depth=1
                                        ;     Parent Loop BB3_56 Depth=2
                                        ; =>    This Inner Loop Header: Depth=3
	global_load_b32 v13, v10, s[46:47] offset:-4
	s_wait_xcnt 0x1
	v_div_scale_f32 v3, null, v2, v2, v5
	v_div_scale_f32 v6, null, v2, v2, v12
	v_div_scale_f32 v16, vcc_lo, v5, v2, v5
	s_delay_alu instid0(VALU_DEP_3)
	v_rcp_f32_e32 v7, v3
	v_nop
	v_xor_b32_e32 v3, 0x80000000, v3
	v_rcp_f32_e32 v8, v6
	v_nop
	v_xor_b32_e32 v6, 0x80000000, v6
	s_delay_alu instid0(TRANS32_DEP_2) | instid1(VALU_DEP_3)
	v_fma_f32 v14, v3, v7, 1.0
	s_delay_alu instid0(TRANS32_DEP_1) | instid1(VALU_DEP_2)
	v_fma_f32 v15, v6, v8, 1.0
	s_delay_alu instid0(VALU_DEP_2) | instskip(SKIP_1) | instid1(VALU_DEP_2)
	v_fmac_f32_e32 v7, v14, v7
	v_div_scale_f32 v14, s4, v12, v2, v12
	v_dual_fmac_f32 v8, v15, v8 :: v_dual_mul_f32 v15, v16, v7
	s_delay_alu instid0(VALU_DEP_1) | instskip(NEXT) | instid1(VALU_DEP_1)
	v_dual_mul_f32 v17, v14, v8 :: v_dual_fma_f32 v18, v3, v15, v16
	v_fma_f32 v19, v6, v17, v14
	s_delay_alu instid0(VALU_DEP_1) | instskip(NEXT) | instid1(VALU_DEP_1)
	v_dual_fmac_f32 v15, v18, v7 :: v_dual_fmac_f32 v17, v19, v8
	v_dual_fmac_f32 v16, v3, v15 :: v_dual_fmac_f32 v14, v6, v17
	s_delay_alu instid0(VALU_DEP_1) | instskip(SKIP_1) | instid1(VALU_DEP_2)
	v_div_fmas_f32 v3, v16, v7, v15
	s_mov_b32 vcc_lo, s4
	v_div_fmas_f32 v6, v14, v8, v17
	s_delay_alu instid0(VALU_DEP_2) | instskip(NEXT) | instid1(VALU_DEP_2)
	v_div_fixup_f32 v3, v3, v2, v5
	v_div_fixup_f32 v2, v6, v2, v12
	s_delay_alu instid0(VALU_DEP_2) | instskip(NEXT) | instid1(VALU_DEP_2)
	v_mul_f32_e32 v6, v9, v3
	v_cmp_eq_f32_e32 vcc_lo, 0, v2
	s_and_b32 vcc_lo, exec_lo, vcc_lo
	s_wait_loadcnt 0x0
	v_sub_f32_e32 v8, v13, v11
	s_delay_alu instid0(VALU_DEP_1) | instskip(NEXT) | instid1(VALU_DEP_1)
	v_pk_fma_f32 v[6:7], v[8:9], v[2:3], v[6:7] op_sel_hi:[1,1,0] neg_lo:[0,0,1] neg_hi:[0,0,1]
	v_sub_f32_e32 v7, v13, v6
	s_delay_alu instid0(VALU_DEP_1)
	v_add_f32_e32 v7, v9, v7
	global_store_b32 v10, v7, s[46:47]
	s_cbranch_vccz .LBB3_76
; %bb.72:                               ;   in Loop: Header=BB3_71 Depth=3
	v_mul_f32_e32 v12, v4, v5
	s_cbranch_execnz .LBB3_74
.LBB3_73:                               ;   in Loop: Header=BB3_71 Depth=3
	v_mul_f32_e32 v4, v6, v6
	s_delay_alu instid0(VALU_DEP_1) | instskip(SKIP_1) | instid1(VALU_DEP_1)
	v_div_scale_f32 v5, null, v2, v2, v4
	s_wait_xcnt 0x0
	v_rcp_f32_e32 v7, v5
	v_nop
	v_xor_b32_e32 v5, 0x80000000, v5
	s_delay_alu instid0(TRANS32_DEP_1) | instid1(VALU_DEP_1)
	v_fma_f32 v8, v5, v7, 1.0
	s_delay_alu instid0(VALU_DEP_1) | instskip(SKIP_1) | instid1(VALU_DEP_1)
	v_fmac_f32_e32 v7, v8, v7
	v_div_scale_f32 v8, vcc_lo, v4, v2, v4
	v_mul_f32_e32 v9, v8, v7
	s_delay_alu instid0(VALU_DEP_1) | instskip(NEXT) | instid1(VALU_DEP_1)
	v_fma_f32 v12, v5, v9, v8
	v_fmac_f32_e32 v9, v12, v7
	s_delay_alu instid0(VALU_DEP_1) | instskip(NEXT) | instid1(VALU_DEP_1)
	v_fmac_f32_e32 v8, v5, v9
	v_div_fmas_f32 v5, v8, v7, v9
	s_delay_alu instid0(VALU_DEP_1)
	v_div_fixup_f32 v12, v5, v2, v4
.LBB3_74:                               ;   in Loop: Header=BB3_71 Depth=3
	s_add_co_i32 s39, s39, -1
	s_add_nc_u64 s[48:49], s[48:49], -4
	s_add_co_i32 s4, s38, s39
	s_wait_xcnt 0x0
	s_add_nc_u64 s[46:47], s[46:47], -4
	s_cmp_le_i32 s4, s36
	s_cbranch_scc1 .LBB3_84
; %bb.75:                               ;   in Loop: Header=BB3_71 Depth=3
	v_dual_mov_b32 v4, v2 :: v_dual_mov_b32 v9, v6
	global_load_b32 v5, v10, s[48:49] offset:-4
	s_cmp_eq_u32 s39, 0
	s_wait_loadcnt 0x0
	v_add_f32_e32 v2, v12, v5
	s_cbranch_scc0 .LBB3_70
	s_branch .LBB3_71
.LBB3_76:                               ;   in Loop: Header=BB3_71 Depth=3
                                        ; implicit-def: $vgpr12
	s_branch .LBB3_73
.LBB3_77:                               ;   in Loop: Header=BB3_56 Depth=2
	s_mov_b32 s36, s4
	s_cbranch_execnz .LBB3_54
	s_branch .LBB3_55
.LBB3_78:                               ;   in Loop: Header=BB3_56 Depth=2
	s_mov_b32 s37, -1
	s_mov_b32 s4, 0
                                        ; implicit-def: $sgpr39
.LBB3_79:                               ;   in Loop: Header=BB3_56 Depth=2
	s_and_b32 vcc_lo, exec_lo, s37
	s_cbranch_vccz .LBB3_86
.LBB3_80:                               ;   in Loop: Header=BB3_56 Depth=2
	s_add_nc_u64 s[42:43], s[10:11], s[42:43]
	s_wait_xcnt 0x0
	v_mov_b32_e32 v3, s38
	global_load_b32 v2, v10, s[42:43]
	global_load_b32 v3, v3, s[6:7] scale_offset
	s_wait_loadcnt 0x1
	v_readfirstlane_b32 s4, v2
	s_mul_f32 s37, s4, 0x4f800000
	s_cmp_lt_f32 s4, 0xf800000
	s_delay_alu instid0(SALU_CYCLE_2) | instskip(NEXT) | instid1(SALU_CYCLE_1)
	s_cselect_b32 s37, s37, s4
	v_s_sqrt_f32 s39, s37
	s_mov_b32 s45, s37
	s_delay_alu instid0(TRANS32_DEP_1) | instskip(NEXT) | instid1(SALU_CYCLE_1)
	s_add_co_i32 s44, s39, -1
	s_xor_b32 s46, s44, 0x80000000
	s_delay_alu instid0(SALU_CYCLE_1) | instskip(SKIP_1) | instid1(SALU_CYCLE_2)
	s_fmac_f32 s45, s46, s39
	s_mov_b32 s46, s37
	s_cmp_le_f32 s45, 0
	s_cselect_b32 s44, s44, s39
	s_add_co_i32 s45, s39, 1
	s_delay_alu instid0(SALU_CYCLE_1) | instskip(NEXT) | instid1(SALU_CYCLE_1)
	s_xor_b32 s47, s45, 0x80000000
	s_fmac_f32 s46, s47, s39
	s_delay_alu instid0(SALU_CYCLE_3)
	s_cmp_gt_f32 s46, 0
	s_cselect_b32 s39, s45, s44
	s_cmp_lt_f32 s4, 0xf800000
	s_mul_f32 s44, s39, 0x37800000
	v_cmp_class_f32_e64 s45, s37, 0x260
	s_wait_loadcnt 0x0
	v_readfirstlane_b32 s4, v3
	s_cselect_b32 s39, s44, s39
	s_and_b32 s44, s45, exec_lo
	s_cselect_b32 s37, s37, s39
	s_sub_f32 s44, s35, s4
	s_add_f32 s45, s37, s37
	s_delay_alu instid0(SALU_CYCLE_2) | instskip(NEXT) | instid1(SALU_CYCLE_2)
	s_and_b32 s39, s44, 0x7fffffff
	s_and_b32 s46, s45, 0x7fffffff
	s_delay_alu instid0(SALU_CYCLE_1)
	s_cmp_ngt_f32 s39, s46
	s_cbranch_scc0 .LBB3_83
; %bb.81:                               ;   in Loop: Header=BB3_56 Depth=2
	s_cmp_nlt_f32 s39, s46
	s_cbranch_scc0 .LBB3_87
; %bb.82:                               ;   in Loop: Header=BB3_56 Depth=2
	s_wait_xcnt 0x0
	v_cvt_f64_f32_e32 v[2:3], s46
	s_delay_alu instid0(VALU_DEP_1) | instskip(NEXT) | instid1(VALU_DEP_1)
	v_mul_f64_e32 v[2:3], 0x3ff6a09e667f3bcd, v[2:3]
	v_cvt_f32_f64_e32 v4, v[2:3]
	s_cbranch_execz .LBB3_88
	s_branch .LBB3_89
.LBB3_83:                               ;   in Loop: Header=BB3_56 Depth=2
                                        ; implicit-def: $vgpr4
	s_branch .LBB3_90
.LBB3_84:                               ;   in Loop: Header=BB3_56 Depth=2
	s_wait_xcnt 0x0
	v_dual_mov_b32 v2, v12 :: v_dual_mov_b32 v9, v6
.LBB3_85:                               ;   in Loop: Header=BB3_56 Depth=2
	s_delay_alu instid0(VALU_DEP_1) | instskip(NEXT) | instid1(VALU_DEP_2)
	v_mul_f32_e32 v2, v3, v2
	v_add_f32_e32 v3, v11, v9
	s_add_co_i32 s39, s55, 1
	s_mov_b32 s4, -1
	s_clause 0x1
	global_store_b32 v10, v2, s[44:45]
	global_store_b32 v10, v3, s[40:41]
	s_and_b32 vcc_lo, exec_lo, s37
	s_cbranch_vccnz .LBB3_80
.LBB3_86:                               ;   in Loop: Header=BB3_56 Depth=2
	s_mov_b32 s55, s39
	s_and_b32 vcc_lo, exec_lo, s4
	s_cbranch_vccz .LBB3_55
	s_branch .LBB3_54
.LBB3_87:                               ;   in Loop: Header=BB3_56 Depth=2
                                        ; implicit-def: $vgpr4
.LBB3_88:                               ;   in Loop: Header=BB3_56 Depth=2
	v_div_scale_f32 v2, null, s46, s46, s39
	v_div_scale_f32 v5, vcc_lo, s39, s46, s39
	s_wait_xcnt 0x0
	s_delay_alu instid0(VALU_DEP_2)
	v_rcp_f32_e32 v3, v2
	v_nop
	v_xor_b32_e32 v2, 0x80000000, v2
	s_delay_alu instid0(TRANS32_DEP_1) | instid1(VALU_DEP_1)
	v_fma_f32 v4, v2, v3, 1.0
	s_delay_alu instid0(VALU_DEP_1) | instskip(NEXT) | instid1(VALU_DEP_1)
	v_fmac_f32_e32 v3, v4, v3
	v_mul_f32_e32 v4, v5, v3
	s_delay_alu instid0(VALU_DEP_1) | instskip(NEXT) | instid1(VALU_DEP_1)
	v_fma_f32 v6, v2, v4, v5
	v_fmac_f32_e32 v4, v6, v3
	s_delay_alu instid0(VALU_DEP_1) | instskip(NEXT) | instid1(VALU_DEP_1)
	v_fmac_f32_e32 v5, v2, v4
	v_div_fmas_f32 v2, v5, v3, v4
	s_delay_alu instid0(VALU_DEP_1) | instskip(NEXT) | instid1(VALU_DEP_1)
	v_div_fixup_f32 v2, v2, |s45|, |s44|
	v_readfirstlane_b32 s47, v2
	s_fmaak_f32 s47, s47, s47, 0x3f800000
	s_delay_alu instid0(SALU_CYCLE_3) | instskip(SKIP_1) | instid1(SALU_CYCLE_2)
	s_mul_f32 s48, s47, 0x4f800000
	s_cmp_lt_f32 s47, 0xf800000
	s_cselect_b32 s48, s48, s47
	s_delay_alu instid0(SALU_CYCLE_1) | instskip(SKIP_1) | instid1(TRANS32_DEP_1)
	v_s_sqrt_f32 s49, s48
	s_mov_b32 s57, s48
	s_add_co_i32 s56, s49, -1
	s_delay_alu instid0(SALU_CYCLE_1) | instskip(NEXT) | instid1(SALU_CYCLE_1)
	s_xor_b32 s58, s56, 0x80000000
	s_fmac_f32 s57, s58, s49
	s_mov_b32 s58, s48
	s_delay_alu instid0(SALU_CYCLE_2) | instskip(SKIP_2) | instid1(SALU_CYCLE_1)
	s_cmp_le_f32 s57, 0
	s_cselect_b32 s56, s56, s49
	s_add_co_i32 s57, s49, 1
	s_xor_b32 s59, s57, 0x80000000
	s_delay_alu instid0(SALU_CYCLE_1) | instskip(NEXT) | instid1(SALU_CYCLE_3)
	s_fmac_f32 s58, s59, s49
	s_cmp_gt_f32 s58, 0
	s_cselect_b32 s49, s57, s56
	s_cmp_lt_f32 s47, 0xf800000
	s_mul_f32 s47, s49, 0x37800000
	v_cmp_class_f32_e64 s56, s48, 0x260
	s_delay_alu instid0(SALU_CYCLE_2) | instskip(SKIP_2) | instid1(SALU_CYCLE_1)
	s_cselect_b32 s47, s47, s49
	s_and_b32 s49, s56, exec_lo
	s_cselect_b32 s47, s48, s47
	s_mul_f32 s47, s46, s47
	s_delay_alu instid0(SALU_CYCLE_3)
	v_mov_b32_e32 v4, s47
.LBB3_89:                               ;   in Loop: Header=BB3_56 Depth=2
	s_cbranch_execnz .LBB3_91
.LBB3_90:                               ;   in Loop: Header=BB3_56 Depth=2
	v_div_scale_f32 v2, null, s39, s39, s46
	v_div_scale_f32 v5, vcc_lo, s46, s39, s46
	s_wait_xcnt 0x0
	s_delay_alu instid0(VALU_DEP_2)
	v_rcp_f32_e32 v3, v2
	v_nop
	v_xor_b32_e32 v2, 0x80000000, v2
	s_delay_alu instid0(TRANS32_DEP_1) | instid1(VALU_DEP_1)
	v_fma_f32 v4, v2, v3, 1.0
	s_delay_alu instid0(VALU_DEP_1) | instskip(NEXT) | instid1(VALU_DEP_1)
	v_fmac_f32_e32 v3, v4, v3
	v_mul_f32_e32 v4, v5, v3
	s_delay_alu instid0(VALU_DEP_1) | instskip(NEXT) | instid1(VALU_DEP_1)
	v_fma_f32 v6, v2, v4, v5
	v_fmac_f32_e32 v4, v6, v3
	s_delay_alu instid0(VALU_DEP_1) | instskip(NEXT) | instid1(VALU_DEP_1)
	v_fmac_f32_e32 v5, v2, v4
	v_div_fmas_f32 v2, v5, v3, v4
	s_delay_alu instid0(VALU_DEP_1) | instskip(NEXT) | instid1(VALU_DEP_1)
	v_div_fixup_f32 v2, v2, |s44|, |s45|
	v_readfirstlane_b32 s44, v2
	s_fmaak_f32 s44, s44, s44, 0x3f800000
	s_delay_alu instid0(SALU_CYCLE_3) | instskip(SKIP_1) | instid1(SALU_CYCLE_2)
	s_mul_f32 s45, s44, 0x4f800000
	s_cmp_lt_f32 s44, 0xf800000
	s_cselect_b32 s45, s45, s44
	s_delay_alu instid0(SALU_CYCLE_1) | instskip(SKIP_1) | instid1(TRANS32_DEP_1)
	v_s_sqrt_f32 s46, s45
	s_mov_b32 s48, s45
	s_add_co_i32 s47, s46, -1
	s_delay_alu instid0(SALU_CYCLE_1) | instskip(NEXT) | instid1(SALU_CYCLE_1)
	s_xor_b32 s49, s47, 0x80000000
	s_fmac_f32 s48, s49, s46
	s_mov_b32 s49, s45
	s_delay_alu instid0(SALU_CYCLE_2) | instskip(SKIP_2) | instid1(SALU_CYCLE_1)
	s_cmp_le_f32 s48, 0
	s_cselect_b32 s47, s47, s46
	s_add_co_i32 s48, s46, 1
	s_xor_b32 s56, s48, 0x80000000
	s_delay_alu instid0(SALU_CYCLE_1) | instskip(NEXT) | instid1(SALU_CYCLE_3)
	s_fmac_f32 s49, s56, s46
	s_cmp_gt_f32 s49, 0
	s_cselect_b32 s46, s48, s47
	s_cmp_lt_f32 s44, 0xf800000
	s_mul_f32 s44, s46, 0x37800000
	v_cmp_class_f32_e64 s47, s45, 0x260
	s_delay_alu instid0(SALU_CYCLE_2) | instskip(SKIP_2) | instid1(SALU_CYCLE_1)
	s_cselect_b32 s44, s44, s46
	s_and_b32 s46, s47, exec_lo
	s_cselect_b32 s44, s45, s44
	s_mul_f32 s39, s39, s44
	s_delay_alu instid0(SALU_CYCLE_3)
	v_mov_b32_e32 v4, s39
.LBB3_91:                               ;   in Loop: Header=BB3_56 Depth=2
	s_and_b32 s39, s35, 0x7fffffff
	s_and_b32 s44, s4, 0x7fffffff
	s_delay_alu instid0(SALU_CYCLE_1) | instskip(SKIP_3) | instid1(SALU_CYCLE_1)
	s_cmp_gt_f32 s39, s44
	s_add_f32 s44, s35, s4
	s_cselect_b32 s39, s4, s35
	s_cselect_b32 s35, s35, s4
	s_cmp_nlt_f32 s44, 0
	s_cbranch_scc0 .LBB3_94
; %bb.92:                               ;   in Loop: Header=BB3_56 Depth=2
	s_cmp_ngt_f32 s44, 0
	s_cbranch_scc0 .LBB3_95
; %bb.93:                               ;   in Loop: Header=BB3_56 Depth=2
	s_wait_xcnt 0x0
	s_delay_alu instid0(VALU_DEP_1)
	v_pk_mul_f32 v[2:3], v[4:5], v[0:1] op_sel_hi:[0,1]
	s_cbranch_execz .LBB3_96
	s_branch .LBB3_97
.LBB3_94:                               ;   in Loop: Header=BB3_56 Depth=2
                                        ; implicit-def: $vgpr3
	s_branch .LBB3_98
.LBB3_95:                               ;   in Loop: Header=BB3_56 Depth=2
                                        ; implicit-def: $vgpr3
.LBB3_96:                               ;   in Loop: Header=BB3_56 Depth=2
	s_delay_alu instid0(VALU_DEP_1) | instskip(SKIP_2) | instid1(VALU_DEP_3)
	v_add_f32_e32 v2, s44, v4
	v_cvt_f64_f32_e32 v[6:7], s35
	v_cvt_f64_f32_e32 v[12:13], s37
	v_mul_f32_e32 v2, 0.5, v2
	s_delay_alu instid0(VALU_DEP_1) | instskip(NEXT) | instid1(VALU_DEP_1)
	v_cvt_f64_f32_e32 v[8:9], v2
	v_div_scale_f64 v[14:15], null, v[8:9], v[8:9], v[6:7]
	s_delay_alu instid0(VALU_DEP_4) | instskip(SKIP_1) | instid1(VALU_DEP_3)
	v_div_scale_f64 v[16:17], null, v[8:9], v[8:9], v[12:13]
	v_div_scale_f64 v[26:27], vcc_lo, v[6:7], v[8:9], v[6:7]
	v_rcp_f64_e32 v[18:19], v[14:15]
	s_delay_alu instid0(VALU_DEP_2) | instskip(NEXT) | instid1(TRANS32_DEP_2)
	v_rcp_f64_e32 v[20:21], v[16:17]
	v_fma_f64 v[22:23], -v[14:15], v[18:19], 1.0
	s_delay_alu instid0(TRANS32_DEP_1) | instskip(NEXT) | instid1(VALU_DEP_2)
	v_fma_f64 v[24:25], -v[16:17], v[20:21], 1.0
	v_fmac_f64_e32 v[18:19], v[18:19], v[22:23]
	s_delay_alu instid0(VALU_DEP_2) | instskip(NEXT) | instid1(VALU_DEP_2)
	v_fmac_f64_e32 v[20:21], v[20:21], v[24:25]
	v_fma_f64 v[22:23], -v[14:15], v[18:19], 1.0
	s_delay_alu instid0(VALU_DEP_2) | instskip(NEXT) | instid1(VALU_DEP_2)
	v_fma_f64 v[24:25], -v[16:17], v[20:21], 1.0
	v_fmac_f64_e32 v[18:19], v[18:19], v[22:23]
	v_div_scale_f64 v[22:23], s4, v[12:13], v[8:9], v[12:13]
	s_delay_alu instid0(VALU_DEP_3) | instskip(NEXT) | instid1(VALU_DEP_3)
	v_fmac_f64_e32 v[20:21], v[20:21], v[24:25]
	v_mul_f64_e32 v[24:25], v[26:27], v[18:19]
	s_delay_alu instid0(VALU_DEP_2) | instskip(NEXT) | instid1(VALU_DEP_2)
	v_mul_f64_e32 v[28:29], v[22:23], v[20:21]
	v_fma_f64 v[14:15], -v[14:15], v[24:25], v[26:27]
	s_delay_alu instid0(VALU_DEP_2) | instskip(NEXT) | instid1(VALU_DEP_2)
	v_fma_f64 v[16:17], -v[16:17], v[28:29], v[22:23]
	v_div_fmas_f64 v[14:15], v[14:15], v[18:19], v[24:25]
	s_mov_b32 vcc_lo, s4
	s_delay_alu instid0(VALU_DEP_2) | instskip(NEXT) | instid1(VALU_DEP_2)
	v_div_fmas_f64 v[16:17], v[16:17], v[20:21], v[28:29]
	v_div_fixup_f64 v[6:7], v[14:15], v[8:9], v[6:7]
	s_delay_alu instid0(VALU_DEP_2) | instskip(SKIP_1) | instid1(VALU_DEP_2)
	v_div_fixup_f64 v[16:17], v[16:17], v[8:9], v[12:13]
	v_cvt_f64_f32_e32 v[8:9], s39
	v_mul_f64_e32 v[12:13], v[16:17], v[12:13]
	s_delay_alu instid0(VALU_DEP_1) | instskip(SKIP_1) | instid1(VALU_DEP_1)
	v_fma_f64 v[6:7], v[6:7], v[8:9], -v[12:13]
	s_wait_xcnt 0x0
	v_cvt_f32_f64_e32 v3, v[6:7]
.LBB3_97:                               ;   in Loop: Header=BB3_56 Depth=2
	s_cbranch_execnz .LBB3_99
.LBB3_98:                               ;   in Loop: Header=BB3_56 Depth=2
	s_delay_alu instid0(VALU_DEP_1) | instskip(SKIP_2) | instid1(VALU_DEP_3)
	v_sub_f32_e32 v2, s44, v4
	v_cvt_f64_f32_e32 v[4:5], s35
	v_cvt_f64_f32_e32 v[8:9], s37
	v_mul_f32_e32 v2, 0.5, v2
	s_delay_alu instid0(VALU_DEP_1) | instskip(NEXT) | instid1(VALU_DEP_1)
	v_cvt_f64_f32_e32 v[6:7], v2
	v_div_scale_f64 v[12:13], null, v[6:7], v[6:7], v[4:5]
	s_delay_alu instid0(VALU_DEP_4) | instskip(SKIP_1) | instid1(VALU_DEP_3)
	v_div_scale_f64 v[14:15], null, v[6:7], v[6:7], v[8:9]
	v_div_scale_f64 v[24:25], vcc_lo, v[4:5], v[6:7], v[4:5]
	v_rcp_f64_e32 v[16:17], v[12:13]
	s_delay_alu instid0(VALU_DEP_2) | instskip(NEXT) | instid1(TRANS32_DEP_2)
	v_rcp_f64_e32 v[18:19], v[14:15]
	v_fma_f64 v[20:21], -v[12:13], v[16:17], 1.0
	s_delay_alu instid0(TRANS32_DEP_1) | instskip(NEXT) | instid1(VALU_DEP_2)
	v_fma_f64 v[22:23], -v[14:15], v[18:19], 1.0
	v_fmac_f64_e32 v[16:17], v[16:17], v[20:21]
	s_delay_alu instid0(VALU_DEP_2) | instskip(NEXT) | instid1(VALU_DEP_2)
	v_fmac_f64_e32 v[18:19], v[18:19], v[22:23]
	v_fma_f64 v[20:21], -v[12:13], v[16:17], 1.0
	s_delay_alu instid0(VALU_DEP_2) | instskip(NEXT) | instid1(VALU_DEP_2)
	v_fma_f64 v[22:23], -v[14:15], v[18:19], 1.0
	v_fmac_f64_e32 v[16:17], v[16:17], v[20:21]
	v_div_scale_f64 v[20:21], s4, v[8:9], v[6:7], v[8:9]
	s_delay_alu instid0(VALU_DEP_3) | instskip(NEXT) | instid1(VALU_DEP_3)
	v_fmac_f64_e32 v[18:19], v[18:19], v[22:23]
	v_mul_f64_e32 v[22:23], v[24:25], v[16:17]
	s_delay_alu instid0(VALU_DEP_2) | instskip(NEXT) | instid1(VALU_DEP_2)
	v_mul_f64_e32 v[26:27], v[20:21], v[18:19]
	v_fma_f64 v[12:13], -v[12:13], v[22:23], v[24:25]
	s_delay_alu instid0(VALU_DEP_2) | instskip(NEXT) | instid1(VALU_DEP_2)
	v_fma_f64 v[14:15], -v[14:15], v[26:27], v[20:21]
	v_div_fmas_f64 v[12:13], v[12:13], v[16:17], v[22:23]
	s_mov_b32 vcc_lo, s4
	s_delay_alu instid0(VALU_DEP_2) | instskip(NEXT) | instid1(VALU_DEP_2)
	v_div_fmas_f64 v[14:15], v[14:15], v[18:19], v[26:27]
	v_div_fixup_f64 v[4:5], v[12:13], v[6:7], v[4:5]
	s_delay_alu instid0(VALU_DEP_2) | instskip(SKIP_1) | instid1(VALU_DEP_2)
	v_div_fixup_f64 v[14:15], v[14:15], v[6:7], v[8:9]
	v_cvt_f64_f32_e32 v[6:7], s39
	v_mul_f64_e32 v[8:9], v[14:15], v[8:9]
	s_delay_alu instid0(VALU_DEP_1) | instskip(SKIP_1) | instid1(VALU_DEP_1)
	v_fma_f64 v[4:5], v[4:5], v[6:7], -v[8:9]
	s_wait_xcnt 0x0
	v_cvt_f32_f64_e32 v3, v[4:5]
.LBB3_99:                               ;   in Loop: Header=BB3_56 Depth=2
	s_ashr_i32 s39, s38, 31
	global_store_b32 v10, v2, s[40:41]
	s_lshl_b64 s[38:39], s[38:39], 2
	s_add_co_i32 s36, s36, 2
	s_add_nc_u64 s[38:39], s[6:7], s[38:39]
	s_clause 0x1
	global_store_b32 v10, v3, s[38:39]
	global_store_b32 v10, v10, s[42:43]
	s_cbranch_execz .LBB3_55
	s_branch .LBB3_54
.LBB3_100:                              ;   in Loop: Header=BB3_3 Depth=1
	s_and_not1_b32 vcc_lo, exec_lo, s4
	s_cbranch_vccnz .LBB3_53
.LBB3_101:                              ;   in Loop: Header=BB3_3 Depth=1
	s_and_b32 vcc_lo, exec_lo, s3
	s_cbranch_vccz .LBB3_114
.LBB3_102:                              ;   in Loop: Header=BB3_3 Depth=1
	s_mov_b32 s55, s53
	s_and_not1_b32 vcc_lo, exec_lo, s27
	s_cbranch_vccnz .LBB3_106
.LBB3_103:                              ;   in Loop: Header=BB3_3 Depth=1
	global_load_b32 v3, v10, s[30:31]
	v_div_scale_f32 v2, null, s54, s54, s15
	s_delay_alu instid0(VALU_DEP_1)
	v_rcp_f32_e32 v4, v2
	v_nop
	v_xor_b32_e32 v2, 0x80000000, v2
	s_delay_alu instid0(TRANS32_DEP_1) | instid1(VALU_DEP_1)
	v_fma_f32 v5, v2, v4, 1.0
	s_delay_alu instid0(VALU_DEP_1) | instskip(SKIP_1) | instid1(VALU_DEP_1)
	v_fmac_f32_e32 v4, v5, v4
	v_div_scale_f32 v5, vcc_lo, s15, s54, s15
	v_mul_f32_e32 v6, v5, v4
	s_delay_alu instid0(VALU_DEP_1) | instskip(NEXT) | instid1(VALU_DEP_1)
	v_fma_f32 v7, v2, v6, v5
	v_fmac_f32_e32 v6, v7, v4
	s_delay_alu instid0(VALU_DEP_1) | instskip(NEXT) | instid1(VALU_DEP_1)
	v_fmac_f32_e32 v5, v2, v6
	v_div_fmas_f32 v2, v5, v4, v6
	s_and_b32 vcc_lo, exec_lo, s2
	s_delay_alu instid0(VALU_DEP_1) | instskip(SKIP_1) | instid1(VALU_DEP_1)
	v_div_fixup_f32 v2, v2, s54, s15
	s_wait_loadcnt 0x0
	v_mul_f32_e32 v3, v2, v3
	global_store_b32 v10, v3, s[30:31]
	s_cbranch_vccnz .LBB3_106
; %bb.104:                              ;   in Loop: Header=BB3_3 Depth=1
	s_add_nc_u64 s[4:5], s[6:7], s[28:29]
	s_add_nc_u64 s[34:35], s[8:9], s[28:29]
	s_mov_b32 s3, s24
.LBB3_105:                              ;   Parent Loop BB3_3 Depth=1
                                        ; =>  This Inner Loop Header: Depth=2
	global_load_b32 v3, v10, s[4:5]
	s_add_co_i32 s3, s3, 1
	s_delay_alu instid0(SALU_CYCLE_1)
	s_cmp_lt_i32 s3, s26
	s_wait_loadcnt 0x0
	v_mul_f32_e32 v3, v2, v3
	s_clause 0x1
	global_store_b32 v10, v3, s[4:5]
	global_load_b32 v3, v10, s[34:35]
	s_add_nc_u64 s[4:5], s[4:5], 4
	s_wait_loadcnt 0x0
	v_mul_f32_e32 v3, v2, v3
	global_store_b32 v10, v3, s[34:35]
	s_wait_xcnt 0x0
	s_add_nc_u64 s[34:35], s[34:35], 4
	s_cbranch_scc1 .LBB3_105
.LBB3_106:                              ;   in Loop: Header=BB3_3 Depth=1
	s_cmp_nlt_f32 s54, s14
	s_cbranch_scc1 .LBB3_110
; %bb.107:                              ;   in Loop: Header=BB3_3 Depth=1
	global_load_b32 v3, v10, s[30:31]
	v_div_scale_f32 v2, null, s54, s54, s14
	s_delay_alu instid0(VALU_DEP_1)
	v_rcp_f32_e32 v4, v2
	v_nop
	v_xor_b32_e32 v2, 0x80000000, v2
	s_delay_alu instid0(TRANS32_DEP_1) | instid1(VALU_DEP_1)
	v_fma_f32 v5, v2, v4, 1.0
	s_delay_alu instid0(VALU_DEP_1) | instskip(SKIP_1) | instid1(VALU_DEP_1)
	v_fmac_f32_e32 v4, v5, v4
	v_div_scale_f32 v5, vcc_lo, s14, s54, s14
	v_mul_f32_e32 v6, v5, v4
	s_delay_alu instid0(VALU_DEP_1) | instskip(NEXT) | instid1(VALU_DEP_1)
	v_fma_f32 v7, v2, v6, v5
	v_fmac_f32_e32 v6, v7, v4
	s_delay_alu instid0(VALU_DEP_1) | instskip(NEXT) | instid1(VALU_DEP_1)
	v_fmac_f32_e32 v5, v2, v6
	v_div_fmas_f32 v2, v5, v4, v6
	s_and_b32 vcc_lo, exec_lo, s2
	s_delay_alu instid0(VALU_DEP_1) | instskip(SKIP_1) | instid1(VALU_DEP_1)
	v_div_fixup_f32 v2, v2, s54, s14
	s_wait_loadcnt 0x0
	v_mul_f32_e32 v3, v2, v3
	global_store_b32 v10, v3, s[30:31]
	s_cbranch_vccnz .LBB3_110
; %bb.108:                              ;   in Loop: Header=BB3_3 Depth=1
	s_add_nc_u64 s[2:3], s[6:7], s[28:29]
	s_add_nc_u64 s[4:5], s[8:9], s[28:29]
.LBB3_109:                              ;   Parent Loop BB3_3 Depth=1
                                        ; =>  This Inner Loop Header: Depth=2
	global_load_b32 v3, v10, s[2:3]
	s_add_co_i32 s24, s24, 1
	s_delay_alu instid0(SALU_CYCLE_1)
	s_cmp_lt_i32 s24, s26
	s_wait_loadcnt 0x0
	v_mul_f32_e32 v3, v2, v3
	s_clause 0x1
	global_store_b32 v10, v3, s[2:3]
	global_load_b32 v3, v10, s[4:5]
	s_add_nc_u64 s[2:3], s[2:3], 4
	s_wait_loadcnt 0x0
	v_mul_f32_e32 v3, v2, v3
	global_store_b32 v10, v3, s[4:5]
	s_wait_xcnt 0x0
	s_add_nc_u64 s[4:5], s[4:5], 4
	s_cbranch_scc1 .LBB3_109
.LBB3_110:                              ;   in Loop: Header=BB3_3 Depth=1
	s_cmp_ge_i32 s55, s12
	s_cselect_b32 s2, -1, 0
	s_cmp_ge_i32 s52, s33
	s_cselect_b32 s3, -1, 0
	s_delay_alu instid0(SALU_CYCLE_1)
	s_or_b32 s2, s3, s2
.LBB3_111:                              ;   in Loop: Header=BB3_3 Depth=1
	s_delay_alu instid0(SALU_CYCLE_1)
	s_and_b32 vcc_lo, exec_lo, s2
	s_mov_b32 s53, s55
	s_cbranch_vccz .LBB3_3
	s_branch .LBB3_158
.LBB3_112:                              ;   in Loop: Header=BB3_114 Depth=2
	s_cmp_lt_i32 s34, s25
	s_cselect_b32 s3, -1, 0
	s_cmp_ge_i32 s53, s12
	s_wait_xcnt 0x0
	s_cselect_b32 s4, -1, 0
	s_delay_alu instid0(SALU_CYCLE_1)
	s_or_b32 s35, s3, s4
.LBB3_113:                              ;   in Loop: Header=BB3_114 Depth=2
	s_delay_alu instid0(SALU_CYCLE_1)
	s_and_not1_b32 vcc_lo, exec_lo, s35
	s_cbranch_vccz .LBB3_102
.LBB3_114:                              ;   Parent Loop BB3_3 Depth=1
                                        ; =>  This Loop Header: Depth=2
                                        ;       Child Loop BB3_117 Depth 3
                                        ;       Child Loop BB3_129 Depth 3
	s_ashr_i32 s35, s34, 31
	s_wait_xcnt 0x0
	s_min_i32 s4, s25, s34
	s_wait_xcnt 0x1
	s_lshl_b64 s[38:39], s[34:35], 2
	s_mov_b32 s3, s34
	s_wait_xcnt 0x0
	s_add_nc_u64 s[40:41], s[6:7], s[38:39]
	s_add_nc_u64 s[36:37], s[22:23], s[38:39]
	s_mov_b32 s5, -1
	s_cmp_le_i32 s3, s25
	s_mov_b32 s42, -1
                                        ; implicit-def: $sgpr35
	s_cbranch_scc1 .LBB3_117
	s_branch .LBB3_116
.LBB3_115:                              ;   in Loop: Header=BB3_117 Depth=3
	s_mov_b32 s3, s35
	s_mov_b32 s5, -1
	s_cmp_le_i32 s3, s25
	s_mov_b32 s42, -1
                                        ; implicit-def: $sgpr35
	s_cbranch_scc1 .LBB3_117
.LBB3_116:                              ;   in Loop: Header=BB3_114 Depth=2
	s_clause 0x1
	global_load_b64 v[2:3], v10, s[40:41] offset:-4
	global_load_b32 v4, v10, s[36:37] offset:-8
	s_add_co_i32 s35, s3, -1
	s_wait_xcnt 0x1
	s_add_nc_u64 s[40:41], s[40:41], -4
	s_wait_xcnt 0x0
	s_add_nc_u64 s[36:37], s[36:37], -4
	s_mov_b32 s5, 0
	s_wait_loadcnt 0x1
	v_mul_f32_e32 v2, v3, v2
	s_wait_loadcnt 0x0
	v_and_b32_e32 v3, 0x7fffffff, v4
	s_delay_alu instid0(VALU_DEP_2) | instskip(NEXT) | instid1(VALU_DEP_1)
	v_and_b32_e32 v2, 0x7fffffff, v2
	v_mul_f32_e32 v2, s51, v2
	s_delay_alu instid0(VALU_DEP_1)
	v_cmp_le_f32_e64 s42, v3, v2
.LBB3_117:                              ;   Parent Loop BB3_3 Depth=1
                                        ;     Parent Loop BB3_114 Depth=2
                                        ; =>    This Inner Loop Header: Depth=3
	s_delay_alu instid0(VALU_DEP_1)
	s_and_not1_b32 vcc_lo, exec_lo, s42
	s_cbranch_vccnz .LBB3_115
; %bb.118:                              ;   in Loop: Header=BB3_114 Depth=2
	s_and_not1_b32 vcc_lo, exec_lo, s5
	s_cbranch_vccz .LBB3_120
; %bb.119:                              ;   in Loop: Header=BB3_114 Depth=2
	s_mov_b32 s4, s3
	global_store_b32 v10, v10, s[36:37] offset:-4
.LBB3_120:                              ;   in Loop: Header=BB3_114 Depth=2
	s_add_co_i32 s3, s34, -1
	s_cmp_eq_u32 s4, s34
	s_mov_b32 s35, -1
	s_cbranch_scc1 .LBB3_135
; %bb.121:                              ;   in Loop: Header=BB3_114 Depth=2
	s_wait_xcnt 0x0
	s_add_nc_u64 s[36:37], s[6:7], s[38:39]
	s_cmp_lg_u32 s4, s3
	global_load_b32 v2, v10, s[36:37]
	s_wait_loadcnt 0x0
	v_readfirstlane_b32 s44, v2
	s_cbranch_scc0 .LBB3_136
; %bb.122:                              ;   in Loop: Header=BB3_114 Depth=2
	s_mov_b32 s45, 0
	s_cmp_lg_u32 s53, s12
	s_mov_b32 s5, s12
	s_mov_b32 s3, 0
	s_cbranch_scc0 .LBB3_137
; %bb.123:                              ;   in Loop: Header=BB3_114 Depth=2
	s_add_nc_u64 s[38:39], s[10:11], s[38:39]
	s_clause 0x1
	global_load_b32 v2, v10, s[38:39] offset:-4
	global_load_b32 v3, v10, s[36:37] offset:-4
	s_wait_loadcnt 0x1
	v_readfirstlane_b32 s3, v2
	v_cmp_gt_f32_e32 vcc_lo, 0xf800000, v2
	s_mul_f32 s5, s3, 0x4f800000
	s_cmp_lt_f32 s3, 0xf800000
	s_delay_alu instid0(SALU_CYCLE_2) | instskip(NEXT) | instid1(SALU_CYCLE_1)
	s_cselect_b32 s3, s5, s3
	v_s_sqrt_f32 s5, s3
	s_mov_b32 s41, s3
	s_delay_alu instid0(TRANS32_DEP_1) | instskip(NEXT) | instid1(SALU_CYCLE_1)
	s_add_co_i32 s40, s5, -1
	s_xor_b32 s42, s40, 0x80000000
	s_delay_alu instid0(SALU_CYCLE_1) | instskip(SKIP_1) | instid1(SALU_CYCLE_2)
	s_fmac_f32 s41, s42, s5
	s_mov_b32 s42, s3
	s_cmp_le_f32 s41, 0
	s_cselect_b32 s40, s40, s5
	s_add_co_i32 s41, s5, 1
	s_delay_alu instid0(SALU_CYCLE_1) | instskip(NEXT) | instid1(SALU_CYCLE_1)
	s_xor_b32 s43, s41, 0x80000000
	s_fmac_f32 s42, s43, s5
	s_delay_alu instid0(SALU_CYCLE_3) | instskip(SKIP_1) | instid1(SALU_CYCLE_1)
	s_cmp_gt_f32 s42, 0
	s_cselect_b32 s5, s41, s40
	s_mul_f32 s40, s5, 0x37800000
	s_delay_alu instid0(SALU_CYCLE_3) | instskip(SKIP_3) | instid1(VALU_DEP_1)
	v_dual_mov_b32 v4, s4 :: v_dual_mov_b32 v5, s40
	global_load_b32 v4, v4, s[6:7] scale_offset
	v_cndmask_b32_e32 v2, s5, v5, vcc_lo
	v_cmp_class_f32_e64 s5, s3, 0x260
	v_cndmask_b32_e64 v2, v2, s3, s5
	s_wait_loadcnt 0x1
	s_delay_alu instid0(VALU_DEP_1) | instskip(NEXT) | instid1(VALU_DEP_1)
	v_dual_subrev_f32 v3, s44, v3 :: v_dual_add_f32 v5, v2, v2
	v_div_scale_f32 v6, null, v5, v5, v3
	v_div_scale_f32 v9, vcc_lo, v3, v5, v3
	s_delay_alu instid0(VALU_DEP_2)
	v_rcp_f32_e32 v7, v6
	v_nop
	v_xor_b32_e32 v6, 0x80000000, v6
	s_delay_alu instid0(TRANS32_DEP_1) | instid1(VALU_DEP_1)
	v_fma_f32 v8, v6, v7, 1.0
	s_delay_alu instid0(VALU_DEP_1) | instskip(NEXT) | instid1(VALU_DEP_1)
	v_fmac_f32_e32 v7, v8, v7
	v_mul_f32_e32 v8, v9, v7
	s_delay_alu instid0(VALU_DEP_1) | instskip(NEXT) | instid1(VALU_DEP_1)
	v_fma_f32 v11, v6, v8, v9
	v_fmac_f32_e32 v8, v11, v7
	s_delay_alu instid0(VALU_DEP_1) | instskip(NEXT) | instid1(VALU_DEP_1)
	v_fmac_f32_e32 v9, v6, v8
	v_div_fmas_f32 v6, v9, v7, v8
	s_delay_alu instid0(VALU_DEP_1) | instskip(NEXT) | instid1(VALU_DEP_1)
	v_div_fixup_f32 v3, v6, v5, v3
	v_readfirstlane_b32 s3, v3
	v_cmp_nle_f32_e32 vcc_lo, 0, v3
	s_fmaak_f32 s3, s3, s3, 0x3f800000
	s_delay_alu instid0(SALU_CYCLE_3) | instskip(SKIP_1) | instid1(SALU_CYCLE_2)
	s_mul_f32 s5, s3, 0x4f800000
	s_cmp_lt_f32 s3, 0xf800000
	s_cselect_b32 s5, s5, s3
	s_delay_alu instid0(SALU_CYCLE_1) | instskip(SKIP_1) | instid1(TRANS32_DEP_1)
	v_s_sqrt_f32 s40, s5
	s_mov_b32 s42, s5
	s_add_co_i32 s41, s40, -1
	s_delay_alu instid0(SALU_CYCLE_1) | instskip(NEXT) | instid1(SALU_CYCLE_1)
	s_xor_b32 s43, s41, 0x80000000
	s_fmac_f32 s42, s43, s40
	s_mov_b32 s43, s5
	s_delay_alu instid0(SALU_CYCLE_2) | instskip(SKIP_2) | instid1(SALU_CYCLE_1)
	s_cmp_le_f32 s42, 0
	s_cselect_b32 s41, s41, s40
	s_add_co_i32 s42, s40, 1
	s_xor_b32 s46, s42, 0x80000000
	s_delay_alu instid0(SALU_CYCLE_1) | instskip(SKIP_1) | instid1(SALU_CYCLE_2)
	s_fmac_f32 s43, s46, s40
	v_cmp_class_f32_e64 s40, s5, 0x260
	s_cmp_gt_f32 s43, 0
	s_cselect_b32 s41, s42, s41
	s_cmp_lt_f32 s3, 0xf800000
	s_mul_f32 s3, s41, 0x37800000
	s_delay_alu instid0(SALU_CYCLE_3) | instskip(SKIP_2) | instid1(SALU_CYCLE_1)
	s_cselect_b32 s3, s3, s41
	s_and_b32 s40, s40, exec_lo
	s_cselect_b32 s3, s5, s3
	s_or_b32 s5, s3, 0x80000000
	s_bitset0_b32 s3, 31
	v_mov_b32_e32 v5, s5
	s_cmp_ge_i32 s4, s34
	s_delay_alu instid0(VALU_DEP_1) | instskip(NEXT) | instid1(VALU_DEP_1)
	v_cndmask_b32_e32 v5, s3, v5, vcc_lo
	v_add_f32_e32 v3, v3, v5
	s_delay_alu instid0(VALU_DEP_1) | instskip(SKIP_1) | instid1(VALU_DEP_2)
	v_div_scale_f32 v5, null, v3, v3, v2
	v_div_scale_f32 v8, vcc_lo, v2, v3, v2
	v_rcp_f32_e32 v6, v5
	v_nop
	v_xor_b32_e32 v5, 0x80000000, v5
	s_delay_alu instid0(TRANS32_DEP_1) | instid1(VALU_DEP_1)
	v_fma_f32 v7, v5, v6, 1.0
	s_delay_alu instid0(VALU_DEP_1) | instskip(NEXT) | instid1(VALU_DEP_1)
	v_fmac_f32_e32 v6, v7, v6
	v_mul_f32_e32 v7, v8, v6
	s_delay_alu instid0(VALU_DEP_1) | instskip(NEXT) | instid1(VALU_DEP_1)
	v_fma_f32 v9, v5, v7, v8
	v_fmac_f32_e32 v7, v9, v6
	s_delay_alu instid0(VALU_DEP_1) | instskip(NEXT) | instid1(VALU_DEP_1)
	v_fmac_f32_e32 v8, v5, v7
	v_div_fmas_f32 v5, v8, v6, v7
	s_delay_alu instid0(VALU_DEP_1) | instskip(NEXT) | instid1(VALU_DEP_1)
	v_div_fixup_f32 v2, v5, v3, v2
	v_dual_mov_b32 v3, 0 :: v_dual_sub_f32 v11, s44, v2
	s_wait_loadcnt 0x0
	s_delay_alu instid0(VALU_DEP_1) | instskip(NEXT) | instid1(VALU_DEP_1)
	v_sub_f32_e32 v9, v4, v11
	v_mul_f32_e32 v2, v9, v9
	s_cbranch_scc1 .LBB3_143
; %bb.124:                              ;   in Loop: Header=BB3_114 Depth=2
	s_ashr_i32 s5, s4, 31
	s_delay_alu instid0(SALU_CYCLE_1) | instskip(NEXT) | instid1(SALU_CYCLE_1)
	s_lshl_b64 s[40:41], s[4:5], 2
	s_add_nc_u64 s[42:43], s[10:11], s[40:41]
	s_add_nc_u64 s[40:41], s[6:7], s[40:41]
	s_clause 0x1
	global_load_b32 v12, v10, s[42:43]
	global_load_b32 v13, v10, s[40:41] offset:4
	s_wait_loadcnt 0x1
	s_wait_xcnt 0x2
	v_add_f32_e32 v4, v2, v12
	s_delay_alu instid0(VALU_DEP_1) | instskip(NEXT) | instid1(VALU_DEP_1)
	v_div_scale_f32 v3, null, v4, v4, v12
	v_rcp_f32_e32 v6, v3
	v_nop
	v_xor_b32_e32 v3, 0x80000000, v3
	s_delay_alu instid0(TRANS32_DEP_1) | instid1(VALU_DEP_1)
	v_fma_f32 v8, v3, v6, 1.0
	s_delay_alu instid0(VALU_DEP_1) | instskip(SKIP_3) | instid1(VALU_DEP_3)
	v_fmac_f32_e32 v6, v8, v6
	v_div_scale_f32 v5, null, v4, v4, v2
	v_div_scale_f32 v15, vcc_lo, v12, v4, v12
	v_div_scale_f32 v8, s3, v2, v4, v2
	v_rcp_f32_e32 v7, v5
	v_nop
	v_xor_b32_e32 v5, 0x80000000, v5
	s_delay_alu instid0(TRANS32_DEP_1) | instid1(VALU_DEP_1)
	v_fma_f32 v14, v5, v7, 1.0
	s_delay_alu instid0(VALU_DEP_1) | instskip(NEXT) | instid1(VALU_DEP_1)
	v_dual_fmac_f32 v7, v14, v7 :: v_dual_mul_f32 v14, v15, v6
	v_dual_mul_f32 v16, v8, v7 :: v_dual_fma_f32 v17, v3, v14, v15
	s_delay_alu instid0(VALU_DEP_1) | instskip(NEXT) | instid1(VALU_DEP_1)
	v_fmac_f32_e32 v14, v17, v6
	v_dual_fma_f32 v18, v5, v16, v8 :: v_dual_fmac_f32 v15, v3, v14
	s_delay_alu instid0(VALU_DEP_1) | instskip(NEXT) | instid1(VALU_DEP_2)
	v_fmac_f32_e32 v16, v18, v7
	v_div_fmas_f32 v3, v15, v6, v14
	s_mov_b32 vcc_lo, s3
	s_delay_alu instid0(VALU_DEP_1) | instskip(NEXT) | instid1(VALU_DEP_3)
	v_div_fixup_f32 v3, v3, v4, v12
	v_fmac_f32_e32 v8, v5, v16
	s_delay_alu instid0(VALU_DEP_1) | instskip(SKIP_2) | instid1(VALU_DEP_2)
	v_div_fmas_f32 v5, v8, v7, v16
	s_wait_loadcnt 0x0
	v_sub_f32_e32 v8, v13, v11
	v_div_fixup_f32 v4, v5, v4, v2
	v_dual_mov_b32 v5, v3 :: v_dual_mul_f32 v2, v9, v3
	s_delay_alu instid0(VALU_DEP_2) | instskip(NEXT) | instid1(VALU_DEP_2)
	v_cmp_eq_f32_e32 vcc_lo, 0, v4
	v_pk_fma_f32 v[6:7], v[8:9], v[4:5], v[2:3] op_sel_hi:[1,1,0] neg_lo:[0,0,1] neg_hi:[0,0,1]
	s_delay_alu instid0(VALU_DEP_1) | instskip(NEXT) | instid1(VALU_DEP_1)
	v_sub_f32_e32 v2, v13, v6
	v_add_f32_e32 v2, v9, v2
	global_store_b32 v10, v2, s[40:41]
	s_cbranch_vccnz .LBB3_126
; %bb.125:                              ;   in Loop: Header=BB3_114 Depth=2
	s_wait_xcnt 0x0
	v_mul_f32_e32 v2, v6, v6
	s_delay_alu instid0(VALU_DEP_1) | instskip(NEXT) | instid1(VALU_DEP_1)
	v_div_scale_f32 v5, null, v4, v4, v2
	v_rcp_f32_e32 v7, v5
	v_nop
	v_xor_b32_e32 v5, 0x80000000, v5
	s_delay_alu instid0(TRANS32_DEP_1) | instid1(VALU_DEP_1)
	v_fma_f32 v8, v5, v7, 1.0
	s_delay_alu instid0(VALU_DEP_1) | instskip(SKIP_1) | instid1(VALU_DEP_1)
	v_fmac_f32_e32 v7, v8, v7
	v_div_scale_f32 v8, vcc_lo, v2, v4, v2
	v_mul_f32_e32 v9, v8, v7
	s_delay_alu instid0(VALU_DEP_1) | instskip(NEXT) | instid1(VALU_DEP_1)
	v_fma_f32 v12, v5, v9, v8
	v_fmac_f32_e32 v9, v12, v7
	s_delay_alu instid0(VALU_DEP_1) | instskip(NEXT) | instid1(VALU_DEP_1)
	v_fmac_f32_e32 v8, v5, v9
	v_div_fmas_f32 v5, v8, v7, v9
	s_delay_alu instid0(VALU_DEP_1)
	v_div_fixup_f32 v12, v5, v4, v2
.LBB3_126:                              ;   in Loop: Header=BB3_114 Depth=2
	s_wait_xcnt 0x0
	s_add_co_i32 s40, s4, 1
	s_delay_alu instid0(SALU_CYCLE_1)
	s_cmp_ge_i32 s40, s34
	s_cbranch_scc1 .LBB3_142
; %bb.127:                              ;   in Loop: Header=BB3_114 Depth=2
	s_ashr_i32 s41, s40, 31
	v_mov_b32_e32 v9, v6
	s_lshl_b64 s[42:43], s[40:41], 2
	s_mov_b32 s5, 1
	s_add_nc_u64 s[40:41], s[8:9], s[42:43]
	s_add_nc_u64 s[42:43], s[20:21], s[42:43]
	global_load_b32 v5, v10, s[40:41]
	s_cmp_eq_u32 s5, 0
	s_wait_loadcnt 0x0
	v_add_f32_e32 v2, v12, v5
	s_cbranch_scc1 .LBB3_129
.LBB3_128:                              ;   in Loop: Header=BB3_114 Depth=2
	s_delay_alu instid0(VALU_DEP_1)
	v_mul_f32_e32 v3, v3, v2
	global_store_b32 v10, v3, s[40:41] offset:-4
.LBB3_129:                              ;   Parent Loop BB3_3 Depth=1
                                        ;     Parent Loop BB3_114 Depth=2
                                        ; =>    This Inner Loop Header: Depth=3
	global_load_b32 v13, v10, s[42:43]
	s_wait_xcnt 0x1
	v_div_scale_f32 v3, null, v2, v2, v5
	v_div_scale_f32 v6, null, v2, v2, v12
	v_div_scale_f32 v16, vcc_lo, v5, v2, v5
	s_delay_alu instid0(VALU_DEP_3)
	v_rcp_f32_e32 v7, v3
	v_nop
	v_xor_b32_e32 v3, 0x80000000, v3
	v_rcp_f32_e32 v8, v6
	v_nop
	v_xor_b32_e32 v6, 0x80000000, v6
	s_delay_alu instid0(TRANS32_DEP_2) | instid1(VALU_DEP_3)
	v_fma_f32 v14, v3, v7, 1.0
	s_delay_alu instid0(TRANS32_DEP_1) | instid1(VALU_DEP_2)
	v_fma_f32 v15, v6, v8, 1.0
	s_delay_alu instid0(VALU_DEP_2) | instskip(SKIP_1) | instid1(VALU_DEP_2)
	v_fmac_f32_e32 v7, v14, v7
	v_div_scale_f32 v14, s3, v12, v2, v12
	v_dual_fmac_f32 v8, v15, v8 :: v_dual_mul_f32 v15, v16, v7
	s_delay_alu instid0(VALU_DEP_1) | instskip(NEXT) | instid1(VALU_DEP_1)
	v_dual_mul_f32 v17, v14, v8 :: v_dual_fma_f32 v18, v3, v15, v16
	v_fma_f32 v19, v6, v17, v14
	s_delay_alu instid0(VALU_DEP_1) | instskip(NEXT) | instid1(VALU_DEP_1)
	v_dual_fmac_f32 v15, v18, v7 :: v_dual_fmac_f32 v17, v19, v8
	v_dual_fmac_f32 v16, v3, v15 :: v_dual_fmac_f32 v14, v6, v17
	s_delay_alu instid0(VALU_DEP_1) | instskip(SKIP_1) | instid1(VALU_DEP_2)
	v_div_fmas_f32 v3, v16, v7, v15
	s_mov_b32 vcc_lo, s3
	v_div_fmas_f32 v6, v14, v8, v17
	s_delay_alu instid0(VALU_DEP_2) | instskip(NEXT) | instid1(VALU_DEP_2)
	v_div_fixup_f32 v3, v3, v2, v5
	v_div_fixup_f32 v2, v6, v2, v12
	s_delay_alu instid0(VALU_DEP_2) | instskip(NEXT) | instid1(VALU_DEP_2)
	v_mul_f32_e32 v6, v9, v3
	v_cmp_eq_f32_e32 vcc_lo, 0, v2
	s_and_b32 vcc_lo, exec_lo, vcc_lo
	s_wait_loadcnt 0x0
	v_sub_f32_e32 v8, v13, v11
	s_delay_alu instid0(VALU_DEP_1) | instskip(NEXT) | instid1(VALU_DEP_1)
	v_pk_fma_f32 v[6:7], v[8:9], v[2:3], v[6:7] op_sel_hi:[1,1,0] neg_lo:[0,0,1] neg_hi:[0,0,1]
	v_sub_f32_e32 v7, v13, v6
	s_delay_alu instid0(VALU_DEP_1)
	v_add_f32_e32 v7, v9, v7
	global_store_b32 v10, v7, s[42:43] offset:-4
	s_cbranch_vccz .LBB3_134
; %bb.130:                              ;   in Loop: Header=BB3_129 Depth=3
	v_mul_f32_e32 v12, v4, v5
	s_cbranch_execnz .LBB3_132
.LBB3_131:                              ;   in Loop: Header=BB3_129 Depth=3
	v_mul_f32_e32 v4, v6, v6
	s_delay_alu instid0(VALU_DEP_1) | instskip(SKIP_1) | instid1(VALU_DEP_1)
	v_div_scale_f32 v5, null, v2, v2, v4
	s_wait_xcnt 0x0
	v_rcp_f32_e32 v7, v5
	v_nop
	v_xor_b32_e32 v5, 0x80000000, v5
	s_delay_alu instid0(TRANS32_DEP_1) | instid1(VALU_DEP_1)
	v_fma_f32 v8, v5, v7, 1.0
	s_delay_alu instid0(VALU_DEP_1) | instskip(SKIP_1) | instid1(VALU_DEP_1)
	v_fmac_f32_e32 v7, v8, v7
	v_div_scale_f32 v8, vcc_lo, v4, v2, v4
	v_mul_f32_e32 v9, v8, v7
	s_delay_alu instid0(VALU_DEP_1) | instskip(NEXT) | instid1(VALU_DEP_1)
	v_fma_f32 v12, v5, v9, v8
	v_fmac_f32_e32 v9, v12, v7
	s_delay_alu instid0(VALU_DEP_1) | instskip(NEXT) | instid1(VALU_DEP_1)
	v_fmac_f32_e32 v8, v5, v9
	v_div_fmas_f32 v5, v8, v7, v9
	s_delay_alu instid0(VALU_DEP_1)
	v_div_fixup_f32 v12, v5, v2, v4
.LBB3_132:                              ;   in Loop: Header=BB3_129 Depth=3
	s_add_co_i32 s5, s5, 1
	s_add_nc_u64 s[40:41], s[40:41], 4
	s_add_co_i32 s3, s4, s5
	s_wait_xcnt 0x0
	s_add_nc_u64 s[42:43], s[42:43], 4
	s_cmp_ge_i32 s3, s34
	s_cbranch_scc1 .LBB3_142
; %bb.133:                              ;   in Loop: Header=BB3_129 Depth=3
	v_dual_mov_b32 v4, v2 :: v_dual_mov_b32 v9, v6
	global_load_b32 v5, v10, s[40:41]
	s_cmp_eq_u32 s5, 0
	s_wait_loadcnt 0x0
	v_add_f32_e32 v2, v12, v5
	s_cbranch_scc0 .LBB3_128
	s_branch .LBB3_129
.LBB3_134:                              ;   in Loop: Header=BB3_129 Depth=3
                                        ; implicit-def: $vgpr12
	s_branch .LBB3_131
.LBB3_135:                              ;   in Loop: Header=BB3_114 Depth=2
	s_mov_b32 s34, s3
	s_cbranch_execnz .LBB3_112
	s_branch .LBB3_113
.LBB3_136:                              ;   in Loop: Header=BB3_114 Depth=2
	s_mov_b32 s45, -1
	s_mov_b32 s3, 0
                                        ; implicit-def: $sgpr5
.LBB3_137:                              ;   in Loop: Header=BB3_114 Depth=2
	s_and_b32 vcc_lo, exec_lo, s45
	s_cbranch_vccz .LBB3_144
.LBB3_138:                              ;   in Loop: Header=BB3_114 Depth=2
	s_wait_xcnt 0x1
	v_mov_b32_e32 v2, s4
	s_clause 0x1
	global_load_b32 v3, v2, s[10:11] scale_offset
	global_load_b32 v4, v2, s[6:7] scale_offset
	s_wait_loadcnt 0x1
	v_readfirstlane_b32 s3, v3
	s_mul_f32 s5, s3, 0x4f800000
	s_cmp_lt_f32 s3, 0xf800000
	s_delay_alu instid0(SALU_CYCLE_2) | instskip(NEXT) | instid1(SALU_CYCLE_1)
	s_cselect_b32 s5, s5, s3
	v_s_sqrt_f32 s38, s5
	s_mov_b32 s40, s5
	s_delay_alu instid0(TRANS32_DEP_1) | instskip(NEXT) | instid1(SALU_CYCLE_1)
	s_add_co_i32 s39, s38, -1
	s_xor_b32 s41, s39, 0x80000000
	s_delay_alu instid0(SALU_CYCLE_1) | instskip(SKIP_1) | instid1(SALU_CYCLE_2)
	s_fmac_f32 s40, s41, s38
	s_mov_b32 s41, s5
	s_cmp_le_f32 s40, 0
	s_cselect_b32 s39, s39, s38
	s_add_co_i32 s40, s38, 1
	s_delay_alu instid0(SALU_CYCLE_1) | instskip(NEXT) | instid1(SALU_CYCLE_1)
	s_xor_b32 s42, s40, 0x80000000
	s_fmac_f32 s41, s42, s38
	s_delay_alu instid0(SALU_CYCLE_3)
	s_cmp_gt_f32 s41, 0
	s_cselect_b32 s38, s40, s39
	s_cmp_lt_f32 s3, 0xf800000
	s_mul_f32 s39, s38, 0x37800000
	v_cmp_class_f32_e64 s40, s5, 0x260
	s_wait_loadcnt 0x0
	v_readfirstlane_b32 s3, v4
	s_cselect_b32 s38, s39, s38
	s_and_b32 s39, s40, exec_lo
	s_cselect_b32 s5, s5, s38
	s_sub_f32 s39, s44, s3
	s_add_f32 s40, s5, s5
	s_delay_alu instid0(SALU_CYCLE_2) | instskip(NEXT) | instid1(SALU_CYCLE_2)
	s_and_b32 s38, s39, 0x7fffffff
	s_and_b32 s41, s40, 0x7fffffff
	s_delay_alu instid0(SALU_CYCLE_1)
	s_cmp_ngt_f32 s38, s41
	s_cbranch_scc0 .LBB3_141
; %bb.139:                              ;   in Loop: Header=BB3_114 Depth=2
	s_cmp_nlt_f32 s38, s41
	s_cbranch_scc0 .LBB3_145
; %bb.140:                              ;   in Loop: Header=BB3_114 Depth=2
	s_wait_xcnt 0x0
	v_cvt_f64_f32_e32 v[2:3], s41
	s_delay_alu instid0(VALU_DEP_1) | instskip(NEXT) | instid1(VALU_DEP_1)
	v_mul_f64_e32 v[2:3], 0x3ff6a09e667f3bcd, v[2:3]
	v_cvt_f32_f64_e32 v4, v[2:3]
	s_cbranch_execz .LBB3_146
	s_branch .LBB3_147
.LBB3_141:                              ;   in Loop: Header=BB3_114 Depth=2
                                        ; implicit-def: $vgpr4
	s_branch .LBB3_148
.LBB3_142:                              ;   in Loop: Header=BB3_114 Depth=2
	v_dual_mov_b32 v9, v6 :: v_dual_mov_b32 v2, v12
.LBB3_143:                              ;   in Loop: Header=BB3_114 Depth=2
	s_delay_alu instid0(VALU_DEP_1)
	v_dual_mul_f32 v2, v2, v3 :: v_dual_add_f32 v3, v11, v9
	s_add_co_i32 s5, s53, 1
	s_mov_b32 s3, -1
	s_clause 0x1
	global_store_b32 v10, v2, s[38:39] offset:-4
	global_store_b32 v10, v3, s[36:37]
	s_and_b32 vcc_lo, exec_lo, s45
	s_cbranch_vccnz .LBB3_138
.LBB3_144:                              ;   in Loop: Header=BB3_114 Depth=2
	s_mov_b32 s53, s5
	s_and_b32 vcc_lo, exec_lo, s3
	s_cbranch_vccz .LBB3_113
	s_branch .LBB3_112
.LBB3_145:                              ;   in Loop: Header=BB3_114 Depth=2
                                        ; implicit-def: $vgpr4
.LBB3_146:                              ;   in Loop: Header=BB3_114 Depth=2
	s_wait_xcnt 0x0
	v_div_scale_f32 v2, null, s41, s41, s38
	v_div_scale_f32 v5, vcc_lo, s38, s41, s38
	s_delay_alu instid0(VALU_DEP_2)
	v_rcp_f32_e32 v3, v2
	v_nop
	v_xor_b32_e32 v2, 0x80000000, v2
	s_delay_alu instid0(TRANS32_DEP_1) | instid1(VALU_DEP_1)
	v_fma_f32 v4, v2, v3, 1.0
	s_delay_alu instid0(VALU_DEP_1) | instskip(NEXT) | instid1(VALU_DEP_1)
	v_fmac_f32_e32 v3, v4, v3
	v_mul_f32_e32 v4, v5, v3
	s_delay_alu instid0(VALU_DEP_1) | instskip(NEXT) | instid1(VALU_DEP_1)
	v_fma_f32 v6, v2, v4, v5
	v_fmac_f32_e32 v4, v6, v3
	s_delay_alu instid0(VALU_DEP_1) | instskip(NEXT) | instid1(VALU_DEP_1)
	v_fmac_f32_e32 v5, v2, v4
	v_div_fmas_f32 v2, v5, v3, v4
	s_delay_alu instid0(VALU_DEP_1) | instskip(NEXT) | instid1(VALU_DEP_1)
	v_div_fixup_f32 v2, v2, |s40|, |s39|
	v_readfirstlane_b32 s42, v2
	s_fmaak_f32 s42, s42, s42, 0x3f800000
	s_delay_alu instid0(SALU_CYCLE_3) | instskip(SKIP_1) | instid1(SALU_CYCLE_2)
	s_mul_f32 s43, s42, 0x4f800000
	s_cmp_lt_f32 s42, 0xf800000
	s_cselect_b32 s43, s43, s42
	s_delay_alu instid0(SALU_CYCLE_1) | instskip(SKIP_1) | instid1(TRANS32_DEP_1)
	v_s_sqrt_f32 s45, s43
	s_mov_b32 s47, s43
	s_add_co_i32 s46, s45, -1
	s_delay_alu instid0(SALU_CYCLE_1) | instskip(NEXT) | instid1(SALU_CYCLE_1)
	s_xor_b32 s48, s46, 0x80000000
	s_fmac_f32 s47, s48, s45
	s_mov_b32 s48, s43
	s_delay_alu instid0(SALU_CYCLE_2) | instskip(SKIP_2) | instid1(SALU_CYCLE_1)
	s_cmp_le_f32 s47, 0
	s_cselect_b32 s46, s46, s45
	s_add_co_i32 s47, s45, 1
	s_xor_b32 s49, s47, 0x80000000
	s_delay_alu instid0(SALU_CYCLE_1) | instskip(NEXT) | instid1(SALU_CYCLE_3)
	s_fmac_f32 s48, s49, s45
	s_cmp_gt_f32 s48, 0
	s_cselect_b32 s45, s47, s46
	s_cmp_lt_f32 s42, 0xf800000
	s_mul_f32 s42, s45, 0x37800000
	v_cmp_class_f32_e64 s46, s43, 0x260
	s_delay_alu instid0(SALU_CYCLE_2) | instskip(SKIP_2) | instid1(SALU_CYCLE_1)
	s_cselect_b32 s42, s42, s45
	s_and_b32 s45, s46, exec_lo
	s_cselect_b32 s42, s43, s42
	s_mul_f32 s42, s41, s42
	s_delay_alu instid0(SALU_CYCLE_3)
	v_mov_b32_e32 v4, s42
.LBB3_147:                              ;   in Loop: Header=BB3_114 Depth=2
	s_cbranch_execnz .LBB3_149
.LBB3_148:                              ;   in Loop: Header=BB3_114 Depth=2
	s_wait_xcnt 0x0
	v_div_scale_f32 v2, null, s38, s38, s41
	v_div_scale_f32 v5, vcc_lo, s41, s38, s41
	s_delay_alu instid0(VALU_DEP_2)
	v_rcp_f32_e32 v3, v2
	v_nop
	v_xor_b32_e32 v2, 0x80000000, v2
	s_delay_alu instid0(TRANS32_DEP_1) | instid1(VALU_DEP_1)
	v_fma_f32 v4, v2, v3, 1.0
	s_delay_alu instid0(VALU_DEP_1) | instskip(NEXT) | instid1(VALU_DEP_1)
	v_fmac_f32_e32 v3, v4, v3
	v_mul_f32_e32 v4, v5, v3
	s_delay_alu instid0(VALU_DEP_1) | instskip(NEXT) | instid1(VALU_DEP_1)
	v_fma_f32 v6, v2, v4, v5
	v_fmac_f32_e32 v4, v6, v3
	s_delay_alu instid0(VALU_DEP_1) | instskip(NEXT) | instid1(VALU_DEP_1)
	v_fmac_f32_e32 v5, v2, v4
	v_div_fmas_f32 v2, v5, v3, v4
	s_delay_alu instid0(VALU_DEP_1) | instskip(NEXT) | instid1(VALU_DEP_1)
	v_div_fixup_f32 v2, v2, |s39|, |s40|
	v_readfirstlane_b32 s39, v2
	s_fmaak_f32 s39, s39, s39, 0x3f800000
	s_delay_alu instid0(SALU_CYCLE_3) | instskip(SKIP_1) | instid1(SALU_CYCLE_2)
	s_mul_f32 s40, s39, 0x4f800000
	s_cmp_lt_f32 s39, 0xf800000
	s_cselect_b32 s40, s40, s39
	s_delay_alu instid0(SALU_CYCLE_1) | instskip(SKIP_1) | instid1(TRANS32_DEP_1)
	v_s_sqrt_f32 s41, s40
	s_mov_b32 s43, s40
	s_add_co_i32 s42, s41, -1
	s_delay_alu instid0(SALU_CYCLE_1) | instskip(NEXT) | instid1(SALU_CYCLE_1)
	s_xor_b32 s45, s42, 0x80000000
	s_fmac_f32 s43, s45, s41
	s_mov_b32 s45, s40
	s_delay_alu instid0(SALU_CYCLE_2) | instskip(SKIP_2) | instid1(SALU_CYCLE_1)
	s_cmp_le_f32 s43, 0
	s_cselect_b32 s42, s42, s41
	s_add_co_i32 s43, s41, 1
	s_xor_b32 s46, s43, 0x80000000
	s_delay_alu instid0(SALU_CYCLE_1) | instskip(NEXT) | instid1(SALU_CYCLE_3)
	s_fmac_f32 s45, s46, s41
	s_cmp_gt_f32 s45, 0
	s_cselect_b32 s41, s43, s42
	s_cmp_lt_f32 s39, 0xf800000
	s_mul_f32 s39, s41, 0x37800000
	v_cmp_class_f32_e64 s42, s40, 0x260
	s_delay_alu instid0(SALU_CYCLE_2) | instskip(SKIP_2) | instid1(SALU_CYCLE_1)
	s_cselect_b32 s39, s39, s41
	s_and_b32 s41, s42, exec_lo
	s_cselect_b32 s39, s40, s39
	s_mul_f32 s38, s38, s39
	s_delay_alu instid0(SALU_CYCLE_3)
	v_mov_b32_e32 v4, s38
.LBB3_149:                              ;   in Loop: Header=BB3_114 Depth=2
	s_and_b32 s38, s44, 0x7fffffff
	s_and_b32 s39, s3, 0x7fffffff
	s_delay_alu instid0(SALU_CYCLE_1) | instskip(SKIP_3) | instid1(SALU_CYCLE_1)
	s_cmp_gt_f32 s38, s39
	s_add_f32 s39, s44, s3
	s_cselect_b32 s38, s3, s44
	s_cselect_b32 s40, s44, s3
	s_cmp_nlt_f32 s39, 0
	s_cbranch_scc0 .LBB3_152
; %bb.150:                              ;   in Loop: Header=BB3_114 Depth=2
	s_cmp_ngt_f32 s39, 0
	s_cbranch_scc0 .LBB3_153
; %bb.151:                              ;   in Loop: Header=BB3_114 Depth=2
	s_wait_xcnt 0x0
	s_delay_alu instid0(VALU_DEP_1)
	v_pk_mul_f32 v[2:3], v[4:5], v[0:1] op_sel_hi:[0,1]
	s_cbranch_execz .LBB3_154
	s_branch .LBB3_155
.LBB3_152:                              ;   in Loop: Header=BB3_114 Depth=2
                                        ; implicit-def: $vgpr3
	s_branch .LBB3_156
.LBB3_153:                              ;   in Loop: Header=BB3_114 Depth=2
                                        ; implicit-def: $vgpr3
.LBB3_154:                              ;   in Loop: Header=BB3_114 Depth=2
	s_wait_xcnt 0x0
	s_delay_alu instid0(VALU_DEP_1) | instskip(SKIP_2) | instid1(VALU_DEP_3)
	v_add_f32_e32 v2, s39, v4
	v_cvt_f64_f32_e32 v[6:7], s40
	v_cvt_f64_f32_e32 v[12:13], s5
	v_mul_f32_e32 v2, 0.5, v2
	s_delay_alu instid0(VALU_DEP_1) | instskip(NEXT) | instid1(VALU_DEP_1)
	v_cvt_f64_f32_e32 v[8:9], v2
	v_div_scale_f64 v[14:15], null, v[8:9], v[8:9], v[6:7]
	s_delay_alu instid0(VALU_DEP_4) | instskip(SKIP_1) | instid1(VALU_DEP_3)
	v_div_scale_f64 v[16:17], null, v[8:9], v[8:9], v[12:13]
	v_div_scale_f64 v[26:27], vcc_lo, v[6:7], v[8:9], v[6:7]
	v_rcp_f64_e32 v[18:19], v[14:15]
	s_delay_alu instid0(VALU_DEP_2) | instskip(NEXT) | instid1(TRANS32_DEP_2)
	v_rcp_f64_e32 v[20:21], v[16:17]
	v_fma_f64 v[22:23], -v[14:15], v[18:19], 1.0
	s_delay_alu instid0(TRANS32_DEP_1) | instskip(NEXT) | instid1(VALU_DEP_2)
	v_fma_f64 v[24:25], -v[16:17], v[20:21], 1.0
	v_fmac_f64_e32 v[18:19], v[18:19], v[22:23]
	s_delay_alu instid0(VALU_DEP_2) | instskip(NEXT) | instid1(VALU_DEP_2)
	v_fmac_f64_e32 v[20:21], v[20:21], v[24:25]
	v_fma_f64 v[22:23], -v[14:15], v[18:19], 1.0
	s_delay_alu instid0(VALU_DEP_2) | instskip(NEXT) | instid1(VALU_DEP_2)
	v_fma_f64 v[24:25], -v[16:17], v[20:21], 1.0
	v_fmac_f64_e32 v[18:19], v[18:19], v[22:23]
	v_div_scale_f64 v[22:23], s3, v[12:13], v[8:9], v[12:13]
	s_delay_alu instid0(VALU_DEP_3) | instskip(NEXT) | instid1(VALU_DEP_3)
	v_fmac_f64_e32 v[20:21], v[20:21], v[24:25]
	v_mul_f64_e32 v[24:25], v[26:27], v[18:19]
	s_delay_alu instid0(VALU_DEP_2) | instskip(NEXT) | instid1(VALU_DEP_2)
	v_mul_f64_e32 v[28:29], v[22:23], v[20:21]
	v_fma_f64 v[14:15], -v[14:15], v[24:25], v[26:27]
	s_delay_alu instid0(VALU_DEP_2) | instskip(NEXT) | instid1(VALU_DEP_2)
	v_fma_f64 v[16:17], -v[16:17], v[28:29], v[22:23]
	v_div_fmas_f64 v[14:15], v[14:15], v[18:19], v[24:25]
	s_mov_b32 vcc_lo, s3
	s_delay_alu instid0(VALU_DEP_2) | instskip(NEXT) | instid1(VALU_DEP_2)
	v_div_fmas_f64 v[16:17], v[16:17], v[20:21], v[28:29]
	v_div_fixup_f64 v[6:7], v[14:15], v[8:9], v[6:7]
	s_delay_alu instid0(VALU_DEP_2) | instskip(SKIP_1) | instid1(VALU_DEP_2)
	v_div_fixup_f64 v[16:17], v[16:17], v[8:9], v[12:13]
	v_cvt_f64_f32_e32 v[8:9], s38
	v_mul_f64_e32 v[12:13], v[16:17], v[12:13]
	s_delay_alu instid0(VALU_DEP_1) | instskip(NEXT) | instid1(VALU_DEP_1)
	v_fma_f64 v[6:7], v[6:7], v[8:9], -v[12:13]
	v_cvt_f32_f64_e32 v3, v[6:7]
.LBB3_155:                              ;   in Loop: Header=BB3_114 Depth=2
	s_cbranch_execnz .LBB3_157
.LBB3_156:                              ;   in Loop: Header=BB3_114 Depth=2
	s_wait_xcnt 0x0
	s_delay_alu instid0(VALU_DEP_1) | instskip(SKIP_2) | instid1(VALU_DEP_3)
	v_sub_f32_e32 v2, s39, v4
	v_cvt_f64_f32_e32 v[4:5], s40
	v_cvt_f64_f32_e32 v[8:9], s5
	v_mul_f32_e32 v2, 0.5, v2
	s_delay_alu instid0(VALU_DEP_1) | instskip(NEXT) | instid1(VALU_DEP_1)
	v_cvt_f64_f32_e32 v[6:7], v2
	v_div_scale_f64 v[12:13], null, v[6:7], v[6:7], v[4:5]
	s_delay_alu instid0(VALU_DEP_4) | instskip(SKIP_1) | instid1(VALU_DEP_3)
	v_div_scale_f64 v[14:15], null, v[6:7], v[6:7], v[8:9]
	v_div_scale_f64 v[24:25], vcc_lo, v[4:5], v[6:7], v[4:5]
	v_rcp_f64_e32 v[16:17], v[12:13]
	s_delay_alu instid0(VALU_DEP_2) | instskip(NEXT) | instid1(TRANS32_DEP_2)
	v_rcp_f64_e32 v[18:19], v[14:15]
	v_fma_f64 v[20:21], -v[12:13], v[16:17], 1.0
	s_delay_alu instid0(TRANS32_DEP_1) | instskip(NEXT) | instid1(VALU_DEP_2)
	v_fma_f64 v[22:23], -v[14:15], v[18:19], 1.0
	v_fmac_f64_e32 v[16:17], v[16:17], v[20:21]
	s_delay_alu instid0(VALU_DEP_2) | instskip(NEXT) | instid1(VALU_DEP_2)
	v_fmac_f64_e32 v[18:19], v[18:19], v[22:23]
	v_fma_f64 v[20:21], -v[12:13], v[16:17], 1.0
	s_delay_alu instid0(VALU_DEP_2) | instskip(NEXT) | instid1(VALU_DEP_2)
	v_fma_f64 v[22:23], -v[14:15], v[18:19], 1.0
	v_fmac_f64_e32 v[16:17], v[16:17], v[20:21]
	v_div_scale_f64 v[20:21], s3, v[8:9], v[6:7], v[8:9]
	s_delay_alu instid0(VALU_DEP_3) | instskip(NEXT) | instid1(VALU_DEP_3)
	v_fmac_f64_e32 v[18:19], v[18:19], v[22:23]
	v_mul_f64_e32 v[22:23], v[24:25], v[16:17]
	s_delay_alu instid0(VALU_DEP_2) | instskip(NEXT) | instid1(VALU_DEP_2)
	v_mul_f64_e32 v[26:27], v[20:21], v[18:19]
	v_fma_f64 v[12:13], -v[12:13], v[22:23], v[24:25]
	s_delay_alu instid0(VALU_DEP_2) | instskip(NEXT) | instid1(VALU_DEP_2)
	v_fma_f64 v[14:15], -v[14:15], v[26:27], v[20:21]
	v_div_fmas_f64 v[12:13], v[12:13], v[16:17], v[22:23]
	s_mov_b32 vcc_lo, s3
	s_delay_alu instid0(VALU_DEP_2) | instskip(NEXT) | instid1(VALU_DEP_2)
	v_div_fmas_f64 v[14:15], v[14:15], v[18:19], v[26:27]
	v_div_fixup_f64 v[4:5], v[12:13], v[6:7], v[4:5]
	s_delay_alu instid0(VALU_DEP_2) | instskip(SKIP_1) | instid1(VALU_DEP_2)
	v_div_fixup_f64 v[14:15], v[14:15], v[6:7], v[8:9]
	v_cvt_f64_f32_e32 v[6:7], s38
	v_mul_f64_e32 v[8:9], v[14:15], v[8:9]
	s_delay_alu instid0(VALU_DEP_1) | instskip(NEXT) | instid1(VALU_DEP_1)
	v_fma_f64 v[4:5], v[4:5], v[6:7], -v[8:9]
	v_cvt_f32_f64_e32 v3, v[4:5]
.LBB3_157:                              ;   in Loop: Header=BB3_114 Depth=2
	s_ashr_i32 s5, s4, 31
	global_store_b32 v10, v2, s[36:37]
	s_lshl_b64 s[4:5], s[4:5], 2
	s_add_co_i32 s34, s34, -2
	s_wait_xcnt 0x0
	s_add_nc_u64 s[36:37], s[6:7], s[4:5]
	s_add_nc_u64 s[4:5], s[10:11], s[4:5]
	global_store_b32 v10, v3, s[36:37]
	global_store_b32 v10, v10, s[4:5]
	s_cbranch_execz .LBB3_113
	s_branch .LBB3_112
.LBB3_158:
	s_cmp_lt_i32 s33, 2
	s_cbranch_scc1 .LBB3_169
; %bb.159:
	s_load_b64 s[0:1], s[0:1], 0x28
	v_mov_b32_e32 v0, 0
	s_lshl_b64 s[2:3], s[16:17], 2
	s_wait_kmcnt 0x0
	s_add_nc_u64 s[0:1], s[0:1], s[2:3]
	s_mov_b32 s2, 1
	s_branch .LBB3_161
.LBB3_160:                              ;   in Loop: Header=BB3_161 Depth=1
	s_add_co_i32 s2, s2, 1
	s_wait_xcnt 0x0
	s_add_nc_u64 s[10:11], s[10:11], 4
	s_cmp_lg_u32 s33, s2
	s_cbranch_scc0 .LBB3_163
.LBB3_161:                              ; =>This Inner Loop Header: Depth=1
	global_load_b32 v1, v0, s[10:11]
	s_wait_loadcnt 0x0
	v_cmp_eq_f32_e32 vcc_lo, 0, v1
	s_cbranch_vccnz .LBB3_160
; %bb.162:                              ;   in Loop: Header=BB3_161 Depth=1
	global_load_b32 v1, v0, s[0:1]
	s_wait_loadcnt 0x0
	v_add_nc_u32_e32 v1, 1, v1
	global_store_b32 v0, v1, s[0:1]
	s_branch .LBB3_160
.LBB3_163:
	v_mov_b32_e32 v0, 0
	s_add_nc_u64 s[0:1], s[6:7], 4
	s_mov_b32 s2, 1
	s_branch .LBB3_165
.LBB3_164:                              ;   in Loop: Header=BB3_165 Depth=1
	s_add_co_i32 s2, s2, 1
	s_add_nc_u64 s[0:1], s[0:1], 4
	s_cmp_lg_u32 s2, s33
	s_cbranch_scc0 .LBB3_169
.LBB3_165:                              ; =>This Loop Header: Depth=1
                                        ;     Child Loop BB3_166 Depth 2
	s_add_co_i32 s10, s2, -1
	s_wait_xcnt 0x1
	v_dual_mov_b32 v1, s2 :: v_dual_mov_b32 v2, s10
	s_ashr_i32 s3, s2, 31
	s_mov_b64 s[8:9], s[0:1]
	s_wait_xcnt 0x0
	s_lshl_b64 s[4:5], s[2:3], 2
	global_load_b32 v1, v1, s[6:7] offset:-4 scale_offset
	s_add_nc_u64 s[4:5], s[6:7], s[4:5]
	s_mov_b32 s3, s2
	s_wait_loadcnt 0x0
	v_mov_b32_e32 v3, v1
.LBB3_166:                              ;   Parent Loop BB3_165 Depth=1
                                        ; =>  This Inner Loop Header: Depth=2
	global_load_b32 v4, v0, s[8:9]
	s_wait_xcnt 0x0
	s_add_nc_u64 s[8:9], s[8:9], 4
	s_wait_loadcnt 0x0
	v_cmp_lt_f32_e32 vcc_lo, v4, v3
	v_cndmask_b32_e32 v3, v3, v4, vcc_lo
	v_cndmask_b32_e64 v2, v2, s3, vcc_lo
	s_add_co_i32 s3, s3, 1
	s_delay_alu instid0(SALU_CYCLE_1)
	s_cmp_eq_u32 s33, s3
	s_cbranch_scc0 .LBB3_166
; %bb.167:                              ;   in Loop: Header=BB3_165 Depth=1
	s_delay_alu instid0(VALU_DEP_1)
	v_cmp_ne_u32_e32 vcc_lo, s10, v2
	s_cbranch_vccz .LBB3_164
; %bb.168:                              ;   in Loop: Header=BB3_165 Depth=1
	s_clause 0x1
	global_store_b32 v2, v1, s[6:7] scale_offset
	global_store_b32 v0, v3, s[4:5] offset:-4
	s_branch .LBB3_164
.LBB3_169:
	s_endpgm
	.section	.rodata,"a",@progbits
	.p2align	6, 0x0
	.amdhsa_kernel _ZN9rocsolver6v33100L12sterf_kernelIfEEviPT_lS3_lPiS4_iS2_S2_S2_
		.amdhsa_group_segment_fixed_size 0
		.amdhsa_private_segment_fixed_size 0
		.amdhsa_kernarg_size 72
		.amdhsa_user_sgpr_count 2
		.amdhsa_user_sgpr_dispatch_ptr 0
		.amdhsa_user_sgpr_queue_ptr 0
		.amdhsa_user_sgpr_kernarg_segment_ptr 1
		.amdhsa_user_sgpr_dispatch_id 0
		.amdhsa_user_sgpr_kernarg_preload_length 0
		.amdhsa_user_sgpr_kernarg_preload_offset 0
		.amdhsa_user_sgpr_private_segment_size 0
		.amdhsa_wavefront_size32 1
		.amdhsa_uses_dynamic_stack 0
		.amdhsa_enable_private_segment 0
		.amdhsa_system_sgpr_workgroup_id_x 1
		.amdhsa_system_sgpr_workgroup_id_y 0
		.amdhsa_system_sgpr_workgroup_id_z 0
		.amdhsa_system_sgpr_workgroup_info 0
		.amdhsa_system_vgpr_workitem_id 0
		.amdhsa_next_free_vgpr 30
		.amdhsa_next_free_sgpr 60
		.amdhsa_named_barrier_count 0
		.amdhsa_reserve_vcc 1
		.amdhsa_float_round_mode_32 0
		.amdhsa_float_round_mode_16_64 0
		.amdhsa_float_denorm_mode_32 3
		.amdhsa_float_denorm_mode_16_64 3
		.amdhsa_fp16_overflow 0
		.amdhsa_memory_ordered 1
		.amdhsa_forward_progress 1
		.amdhsa_inst_pref_size 81
		.amdhsa_round_robin_scheduling 0
		.amdhsa_exception_fp_ieee_invalid_op 0
		.amdhsa_exception_fp_denorm_src 0
		.amdhsa_exception_fp_ieee_div_zero 0
		.amdhsa_exception_fp_ieee_overflow 0
		.amdhsa_exception_fp_ieee_underflow 0
		.amdhsa_exception_fp_ieee_inexact 0
		.amdhsa_exception_int_div_zero 0
	.end_amdhsa_kernel
	.section	.text._ZN9rocsolver6v33100L12sterf_kernelIfEEviPT_lS3_lPiS4_iS2_S2_S2_,"axG",@progbits,_ZN9rocsolver6v33100L12sterf_kernelIfEEviPT_lS3_lPiS4_iS2_S2_S2_,comdat
.Lfunc_end3:
	.size	_ZN9rocsolver6v33100L12sterf_kernelIfEEviPT_lS3_lPiS4_iS2_S2_S2_, .Lfunc_end3-_ZN9rocsolver6v33100L12sterf_kernelIfEEviPT_lS3_lPiS4_iS2_S2_S2_
                                        ; -- End function
	.set _ZN9rocsolver6v33100L12sterf_kernelIfEEviPT_lS3_lPiS4_iS2_S2_S2_.num_vgpr, 30
	.set _ZN9rocsolver6v33100L12sterf_kernelIfEEviPT_lS3_lPiS4_iS2_S2_S2_.num_agpr, 0
	.set _ZN9rocsolver6v33100L12sterf_kernelIfEEviPT_lS3_lPiS4_iS2_S2_S2_.numbered_sgpr, 60
	.set _ZN9rocsolver6v33100L12sterf_kernelIfEEviPT_lS3_lPiS4_iS2_S2_S2_.num_named_barrier, 0
	.set _ZN9rocsolver6v33100L12sterf_kernelIfEEviPT_lS3_lPiS4_iS2_S2_S2_.private_seg_size, 0
	.set _ZN9rocsolver6v33100L12sterf_kernelIfEEviPT_lS3_lPiS4_iS2_S2_S2_.uses_vcc, 1
	.set _ZN9rocsolver6v33100L12sterf_kernelIfEEviPT_lS3_lPiS4_iS2_S2_S2_.uses_flat_scratch, 0
	.set _ZN9rocsolver6v33100L12sterf_kernelIfEEviPT_lS3_lPiS4_iS2_S2_S2_.has_dyn_sized_stack, 0
	.set _ZN9rocsolver6v33100L12sterf_kernelIfEEviPT_lS3_lPiS4_iS2_S2_S2_.has_recursion, 0
	.set _ZN9rocsolver6v33100L12sterf_kernelIfEEviPT_lS3_lPiS4_iS2_S2_S2_.has_indirect_call, 0
	.section	.AMDGPU.csdata,"",@progbits
; Kernel info:
; codeLenInByte = 10352
; TotalNumSgprs: 62
; NumVgprs: 30
; ScratchSize: 0
; MemoryBound: 0
; FloatMode: 240
; IeeeMode: 1
; LDSByteSize: 0 bytes/workgroup (compile time only)
; SGPRBlocks: 0
; VGPRBlocks: 1
; NumSGPRsForWavesPerEU: 62
; NumVGPRsForWavesPerEU: 30
; NamedBarCnt: 0
; Occupancy: 16
; WaveLimiterHint : 0
; COMPUTE_PGM_RSRC2:SCRATCH_EN: 0
; COMPUTE_PGM_RSRC2:USER_SGPR: 2
; COMPUTE_PGM_RSRC2:TRAP_HANDLER: 0
; COMPUTE_PGM_RSRC2:TGID_X_EN: 1
; COMPUTE_PGM_RSRC2:TGID_Y_EN: 0
; COMPUTE_PGM_RSRC2:TGID_Z_EN: 0
; COMPUTE_PGM_RSRC2:TIDIG_COMP_CNT: 0
	.section	.text._ZN9rocsolver6v33100L11lasr_kernelIffPfiEEv13rocblas_side_14rocblas_pivot_15rocblas_direct_T2_S6_PT0_lS8_lT1_lS6_lS6_,"axG",@progbits,_ZN9rocsolver6v33100L11lasr_kernelIffPfiEEv13rocblas_side_14rocblas_pivot_15rocblas_direct_T2_S6_PT0_lS8_lT1_lS6_lS6_,comdat
	.globl	_ZN9rocsolver6v33100L11lasr_kernelIffPfiEEv13rocblas_side_14rocblas_pivot_15rocblas_direct_T2_S6_PT0_lS8_lT1_lS6_lS6_ ; -- Begin function _ZN9rocsolver6v33100L11lasr_kernelIffPfiEEv13rocblas_side_14rocblas_pivot_15rocblas_direct_T2_S6_PT0_lS8_lT1_lS6_lS6_
	.p2align	8
	.type	_ZN9rocsolver6v33100L11lasr_kernelIffPfiEEv13rocblas_side_14rocblas_pivot_15rocblas_direct_T2_S6_PT0_lS8_lT1_lS6_lS6_,@function
_ZN9rocsolver6v33100L11lasr_kernelIffPfiEEv13rocblas_side_14rocblas_pivot_15rocblas_direct_T2_S6_PT0_lS8_lT1_lS6_lS6_: ; @_ZN9rocsolver6v33100L11lasr_kernelIffPfiEEv13rocblas_side_14rocblas_pivot_15rocblas_direct_T2_S6_PT0_lS8_lT1_lS6_lS6_
; %bb.0:
	s_load_b32 s33, s[0:1], 0x58
	s_bfe_u32 s2, ttmp6, 0x40014
	s_lshr_b32 s3, ttmp7, 16
	s_add_co_i32 s2, s2, 1
	s_bfe_u32 s5, ttmp6, 0x40008
	s_mul_i32 s2, s3, s2
	s_getreg_b32 s4, hwreg(HW_REG_IB_STS2, 6, 4)
	s_add_co_i32 s5, s5, s2
	s_cmp_eq_u32 s4, 0
	s_cselect_b32 s2, s3, s5
	s_mov_b32 s3, 0
	s_wait_kmcnt 0x0
	s_cmp_ge_u32 s2, s33
	s_cbranch_scc1 .LBB4_108
; %bb.1:
	s_clause 0x3
	s_load_b32 s20, s[0:1], 0x48
	s_load_b64 s[22:23], s[0:1], 0x68
	s_load_b128 s[16:19], s[0:1], 0x38
	s_load_b128 s[12:15], s[0:1], 0x0
	s_bfe_u32 s5, ttmp6, 0x4000c
	s_and_b32 s6, ttmp6, 15
	s_add_co_i32 s5, s5, 1
	s_load_b32 s24, s[0:1], 0x60
	s_mul_i32 s5, ttmp9, s5
	s_mov_b32 s37, s3
	s_add_co_i32 s6, s6, s5
	s_mov_b32 s49, s3
	s_wait_kmcnt 0x0
	s_ashr_i32 s21, s20, 31
	s_and_b32 s25, s23, 0xffff
	s_cmp_eq_u32 s4, 0
	s_load_b32 s23, s[0:1], 0x10
	s_cselect_b32 s26, ttmp9, s6
	s_lshl_b64 s[46:47], s[18:19], 2
	v_mad_u32 v0, s26, s25, v0
	s_cmp_eq_u32 s12, 0x8d
	s_load_b64 s[18:19], s[0:1], 0x50
	s_cselect_b32 s27, -1, 0
	s_cmp_eq_u32 s12, 0x8e
	s_load_b256 s[4:11], s[0:1], 0x18
	s_cselect_b32 s28, -1, 0
	s_cmp_eq_u32 s13, 0x119
	s_mul_i32 s12, s24, s25
	s_cselect_b32 s29, -1, 0
	s_cmp_eq_u32 s13, 0x11b
	v_ashrrev_i32_e32 v1, 31, v0
	s_wait_xcnt 0x0
	s_cselect_b32 s0, -1, 0
	s_cmp_eq_u32 s13, 0x11a
	s_add_nc_u64 s[24:25], s[16:17], s[46:47]
	s_cselect_b32 s1, -1, 0
	v_mul_u64_e32 v[8:9], s[20:21], v[0:1]
	s_cmp_eq_u32 s14, 0xab
	v_lshlrev_b64_e32 v[10:11], 2, v[0:1]
	s_cselect_b32 s13, -1, 0
	s_cmp_eq_u32 s14, 0xac
	v_mov_b32_e32 v1, 0
	s_cselect_b32 s30, -1, 0
	s_and_b32 s26, s27, s1
	s_and_b32 s14, s27, s29
	;; [unrolled: 1-line block ×6, first 2 shown]
	s_xor_b32 s78, s26, -1
	s_and_b32 s26, s28, s29
	s_and_b32 s1, s28, s1
	;; [unrolled: 1-line block ×3, first 2 shown]
	v_cmp_gt_i32_e64 s0, s15, v0
	s_and_b32 s34, s14, s30
	s_xor_b32 s14, s31, -1
	s_and_b32 s31, s27, s13
	s_and_b32 s27, s27, s30
	;; [unrolled: 1-line block ×3, first 2 shown]
	s_xor_b32 s80, s27, -1
	s_and_b32 s26, s26, s30
	s_and_b32 s27, s1, s13
	;; [unrolled: 1-line block ×3, first 2 shown]
	s_xor_b32 s82, s26, -1
	s_and_b32 s13, s28, s13
	s_xor_b32 s84, s1, -1
	s_wait_kmcnt 0x0
	s_add_co_i32 s26, s23, -1
	s_and_b32 s1, s30, s0
	s_xor_b32 s76, s34, -1
	s_xor_b32 s77, s35, -1
	;; [unrolled: 1-line block ×6, first 2 shown]
	s_ashr_i32 s27, s26, 31
	s_and_b32 s86, s28, s1
	s_add_co_i32 s36, s23, -2
	s_cmp_gt_i32 s23, 1
	s_mul_u64 s[28:29], s[20:21], s[26:27]
	s_mov_b32 s27, s3
	s_cselect_b32 s87, -1, 0
	s_ashr_i32 s31, s15, 31
	s_add_co_i32 s48, s15, -2
	s_cmp_gt_i32 s15, 1
	s_mul_u64 s[50:51], s[20:21], s[26:27]
	s_cselect_b32 s88, -1, 0
	s_lshl_b64 s[50:51], s[50:51], 2
	s_lshl_b64 s[42:43], s[20:21], 2
	s_add_nc_u64 s[50:51], s[50:51], s[46:47]
	s_lshl_b64 s[38:39], s[36:37], 2
	s_mul_u64 s[36:37], s[20:21], s[36:37]
	s_add_nc_u64 s[50:51], s[16:17], s[50:51]
	s_add_nc_u64 s[52:53], s[46:47], s[42:43]
	s_lshl_b64 s[36:37], s[36:37], 2
	v_add_nc_u64_e32 v[6:7], s[50:51], v[10:11]
	s_add_nc_u64 s[50:51], s[16:17], s[52:53]
	v_lshl_add_u64 v[14:15], v[8:9], 2, s[46:47]
	s_add_nc_u64 s[40:41], s[36:37], s[46:47]
	v_add_nc_u64_e32 v[8:9], s[50:51], v[10:11]
	s_lshl_b64 s[50:51], s[48:49], 2
	s_add_nc_u64 s[34:35], s[4:5], s[38:39]
	s_add_nc_u64 s[36:37], s[8:9], s[38:39]
	s_add_nc_u64 s[38:39], s[16:17], s[40:41]
	s_add_nc_u64 s[48:49], s[16:17], s[50:51]
	v_add_nc_u64_e32 v[2:3], s[38:39], v[10:11]
	v_add_nc_u64_e32 v[4:5], s[24:25], v[10:11]
	;; [unrolled: 1-line block ×4, first 2 shown]
	s_add_co_i32 s46, s15, -1
	s_mov_b32 s47, s3
	s_ashr_i32 s13, s12, 31
	s_lshl_b64 s[52:53], s[46:47], 2
	v_cmp_gt_i32_e64 s1, s23, v0
	s_add_nc_u64 s[16:17], s[16:17], s[52:53]
	v_add_nc_u64_e32 v[16:17], 4, v[10:11]
	v_add_nc_u64_e32 v[14:15], s[16:17], v[14:15]
	;; [unrolled: 1-line block ×3, first 2 shown]
	s_mul_u64 s[52:53], s[20:21], s[12:13]
	s_mov_b32 s30, s15
	s_lshl_b64 s[6:7], s[6:7], 2
	s_lshl_b64 s[10:11], s[10:11], 2
	;; [unrolled: 1-line block ×4, first 2 shown]
	s_sub_nc_u64 s[44:45], 0, s[42:43]
	s_add_co_i32 s27, s23, 1
	s_add_nc_u64 s[48:49], s[4:5], s[50:51]
	s_add_nc_u64 s[16:17], s[8:9], s[50:51]
	s_lshl_b64 s[50:51], s[52:53], 2
	s_add_co_i32 s13, s15, 1
	s_branch .LBB4_4
.LBB4_2:                                ;   in Loop: Header=BB4_4 Depth=1
	s_or_b32 exec_lo, exec_lo, s47
.LBB4_3:                                ;   in Loop: Header=BB4_4 Depth=1
	s_add_co_i32 s2, s2, s22
	s_delay_alu instid0(SALU_CYCLE_1)
	s_cmp_ge_u32 s2, s33
	s_cbranch_scc1 .LBB4_108
.LBB4_4:                                ; =>This Loop Header: Depth=1
                                        ;     Child Loop BB4_19 Depth 2
                                        ;       Child Loop BB4_20 Depth 3
                                        ;     Child Loop BB4_26 Depth 2
                                        ;       Child Loop BB4_27 Depth 3
	;; [unrolled: 2-line block ×12, first 2 shown]
	s_mul_u64 s[62:63], s[38:39], s[2:3]
	s_mul_u64 s[54:55], s[18:19], s[2:3]
	v_add_nc_u64_e32 v[20:21], s[62:63], v[16:17]
	s_mul_u64 s[64:65], s[6:7], s[2:3]
	s_mul_u64 s[66:67], s[10:11], s[2:3]
	s_lshl_b64 s[56:57], s[54:55], 2
	s_add_nc_u64 s[52:53], s[4:5], s[64:65]
	s_add_nc_u64 s[54:55], s[8:9], s[66:67]
	;; [unrolled: 1-line block ×3, first 2 shown]
	s_and_b32 vcc_lo, exec_lo, s14
	s_mov_b32 s47, -1
	s_cbranch_vccnz .LBB4_6
; %bb.5:                                ;   in Loop: Header=BB4_4 Depth=1
	s_and_not1_b32 vcc_lo, exec_lo, s47
	s_cbranch_vccnz .LBB4_3
	s_branch .LBB4_103
.LBB4_6:                                ;   in Loop: Header=BB4_4 Depth=1
	s_add_nc_u64 s[58:59], s[48:49], s[64:65]
	s_add_nc_u64 s[60:61], s[16:17], s[66:67]
	s_and_b32 vcc_lo, exec_lo, s76
	s_cbranch_vccz .LBB4_95
; %bb.7:                                ;   in Loop: Header=BB4_4 Depth=1
	s_and_b32 vcc_lo, exec_lo, s77
	s_cbranch_vccz .LBB4_87
; %bb.8:                                ;   in Loop: Header=BB4_4 Depth=1
	;; [unrolled: 3-line block ×3, first 2 shown]
	s_and_b32 vcc_lo, exec_lo, s79
	s_cbranch_vccz .LBB4_71
; %bb.10:                               ;   in Loop: Header=BB4_4 Depth=1
	s_and_b32 vcc_lo, exec_lo, s80
	s_cbranch_vccz .LBB4_63
; %bb.11:                               ;   in Loop: Header=BB4_4 Depth=1
	v_add_nc_u64_e32 v[22:23], s[62:63], v[4:5]
	s_and_b32 vcc_lo, exec_lo, s81
	s_cbranch_vccz .LBB4_55
; %bb.12:                               ;   in Loop: Header=BB4_4 Depth=1
	v_add_nc_u64_e32 v[24:25], s[62:63], v[6:7]
	v_add_nc_u64_e32 v[26:27], s[62:63], v[2:3]
	s_add_nc_u64 s[64:65], s[34:35], s[64:65]
	s_add_nc_u64 s[66:67], s[36:37], s[66:67]
	s_and_b32 vcc_lo, exec_lo, s82
	s_cbranch_vccz .LBB4_46
; %bb.13:                               ;   in Loop: Header=BB4_4 Depth=1
	s_and_b32 vcc_lo, exec_lo, s83
	s_cbranch_vccz .LBB4_38
; %bb.14:                               ;   in Loop: Header=BB4_4 Depth=1
	;; [unrolled: 3-line block ×4, first 2 shown]
	s_and_saveexec_b32 s47, s86
	s_cbranch_execz .LBB4_21
; %bb.17:                               ;   in Loop: Header=BB4_4 Depth=1
	v_mov_b64_e32 v[28:29], v[26:27]
	v_mov_b32_e32 v30, v0
	s_lshl_b64 s[68:69], s[28:29], 2
	s_mov_b32 s74, 0
	s_add_nc_u64 s[68:69], s[56:57], s[68:69]
	s_branch .LBB4_19
.LBB4_18:                               ;   in Loop: Header=BB4_19 Depth=2
	v_ashrrev_i32_e32 v31, 31, v30
	v_add_nc_u64_e32 v[28:29], s[40:41], v[28:29]
	s_delay_alu instid0(VALU_DEP_2)
	v_lshl_add_u64 v[34:35], v[30:31], 2, s[68:69]
	s_wait_xcnt 0x0
	v_add_nc_u32_e32 v30, s12, v30
	s_wait_loadcnt 0x0
	global_store_b32 v[34:35], v32, off
	v_cmp_le_i32_e32 vcc_lo, s15, v30
	s_or_b32 s74, vcc_lo, s74
	s_wait_xcnt 0x0
	s_and_not1_b32 exec_lo, exec_lo, s74
	s_cbranch_execz .LBB4_21
.LBB4_19:                               ;   Parent Loop BB4_4 Depth=1
                                        ; =>  This Loop Header: Depth=2
                                        ;       Child Loop BB4_20 Depth 3
	global_load_b32 v32, v30, s[68:69] scale_offset
	v_mov_b64_e32 v[34:35], v[28:29]
	s_and_not1_b32 vcc_lo, exec_lo, s87
	s_mov_b64 s[70:71], s[66:67]
	s_mov_b64 s[72:73], s[64:65]
	s_mov_b32 s75, s26
	s_cbranch_vccnz .LBB4_18
.LBB4_20:                               ;   Parent Loop BB4_4 Depth=1
                                        ;     Parent Loop BB4_19 Depth=2
                                        ; =>    This Inner Loop Header: Depth=3
	s_clause 0x1
	global_load_b32 v33, v1, s[72:73]
	global_load_b32 v36, v1, s[70:71]
	global_load_b32 v37, v[34:35], off
	s_wait_loadcnt 0x3
	v_mov_b32_e32 v38, v32
	s_add_co_i32 s75, s75, -1
	s_wait_xcnt 0x2
	s_add_nc_u64 s[72:73], s[72:73], -4
	s_cmp_eq_u32 s75, 0
	s_wait_xcnt 0x1
	s_add_nc_u64 s[70:71], s[70:71], -4
	s_wait_loadcnt 0x1
	v_mov_b32_e32 v39, v36
	s_wait_loadcnt 0x0
	v_pk_mul_f32 v[40:41], v[32:33], v[36:37]
	s_delay_alu instid0(VALU_DEP_1) | instskip(NEXT) | instid1(VALU_DEP_1)
	v_dual_mov_b32 v36, v33 :: v_dual_add_f32 v31, v40, v41
	v_pk_mul_f32 v[32:33], v[38:39], v[36:37]
	global_store_b32 v[34:35], v31, off
	s_wait_xcnt 0x0
	v_add_nc_u64_e32 v[34:35], s[44:45], v[34:35]
	v_sub_f32_e32 v32, v32, v33
	s_cbranch_scc0 .LBB4_20
	s_branch .LBB4_18
.LBB4_21:                               ;   in Loop: Header=BB4_4 Depth=1
	s_or_b32 exec_lo, exec_lo, s47
	s_mov_b32 s47, 0
.LBB4_22:                               ;   in Loop: Header=BB4_4 Depth=1
	s_delay_alu instid0(SALU_CYCLE_1)
	s_and_not1_b32 vcc_lo, exec_lo, s47
	s_cbranch_vccnz .LBB4_29
; %bb.23:                               ;   in Loop: Header=BB4_4 Depth=1
	s_and_saveexec_b32 s47, s0
	s_cbranch_execz .LBB4_28
; %bb.24:                               ;   in Loop: Header=BB4_4 Depth=1
	v_mov_b64_e32 v[28:29], v[22:23]
	v_mov_b32_e32 v30, v0
	s_lshl_b64 s[68:69], s[28:29], 2
	s_mov_b32 s74, 0
	s_add_nc_u64 s[68:69], s[56:57], s[68:69]
	s_branch .LBB4_26
.LBB4_25:                               ;   in Loop: Header=BB4_26 Depth=2
	v_ashrrev_i32_e32 v31, 31, v30
	v_add_nc_u64_e32 v[28:29], s[40:41], v[28:29]
	s_delay_alu instid0(VALU_DEP_2)
	v_lshl_add_u64 v[34:35], v[30:31], 2, s[68:69]
	s_wait_xcnt 0x0
	v_add_nc_u32_e32 v30, s12, v30
	s_wait_loadcnt 0x0
	global_store_b32 v[34:35], v32, off
	v_cmp_le_i32_e32 vcc_lo, s15, v30
	s_or_b32 s74, vcc_lo, s74
	s_wait_xcnt 0x0
	s_and_not1_b32 exec_lo, exec_lo, s74
	s_cbranch_execz .LBB4_28
.LBB4_26:                               ;   Parent Loop BB4_4 Depth=1
                                        ; =>  This Loop Header: Depth=2
                                        ;       Child Loop BB4_27 Depth 3
	global_load_b32 v32, v30, s[68:69] scale_offset
	v_mov_b64_e32 v[34:35], v[28:29]
	s_and_not1_b32 vcc_lo, exec_lo, s87
	s_mov_b64 s[70:71], s[54:55]
	s_mov_b64 s[72:73], s[52:53]
	s_mov_b32 s75, s26
	s_cbranch_vccnz .LBB4_25
.LBB4_27:                               ;   Parent Loop BB4_4 Depth=1
                                        ;     Parent Loop BB4_26 Depth=2
                                        ; =>    This Inner Loop Header: Depth=3
	s_clause 0x1
	global_load_b32 v33, v1, s[72:73]
	global_load_b32 v36, v1, s[70:71]
	global_load_b32 v37, v[34:35], off
	s_wait_loadcnt 0x3
	v_mov_b32_e32 v38, v32
	s_add_co_i32 s75, s75, -1
	s_wait_xcnt 0x2
	s_add_nc_u64 s[72:73], s[72:73], 4
	s_cmp_eq_u32 s75, 0
	s_wait_xcnt 0x1
	s_add_nc_u64 s[70:71], s[70:71], 4
	s_wait_loadcnt 0x1
	v_mov_b32_e32 v39, v36
	s_wait_loadcnt 0x0
	v_pk_mul_f32 v[40:41], v[32:33], v[36:37]
	s_delay_alu instid0(VALU_DEP_1) | instskip(NEXT) | instid1(VALU_DEP_1)
	v_dual_mov_b32 v36, v33 :: v_dual_add_f32 v31, v40, v41
	v_pk_mul_f32 v[32:33], v[38:39], v[36:37]
	global_store_b32 v[34:35], v31, off
	s_wait_xcnt 0x0
	v_add_nc_u64_e32 v[34:35], s[42:43], v[34:35]
	v_sub_f32_e32 v32, v32, v33
	s_cbranch_scc0 .LBB4_27
	s_branch .LBB4_25
.LBB4_28:                               ;   in Loop: Header=BB4_4 Depth=1
	s_or_b32 exec_lo, exec_lo, s47
.LBB4_29:                               ;   in Loop: Header=BB4_4 Depth=1
	s_mov_b32 s47, 0
.LBB4_30:                               ;   in Loop: Header=BB4_4 Depth=1
	s_delay_alu instid0(SALU_CYCLE_1)
	s_and_not1_b32 vcc_lo, exec_lo, s47
	s_cbranch_vccnz .LBB4_37
; %bb.31:                               ;   in Loop: Header=BB4_4 Depth=1
	s_and_saveexec_b32 s47, s0
	s_cbranch_execz .LBB4_36
; %bb.32:                               ;   in Loop: Header=BB4_4 Depth=1
	v_mov_b64_e32 v[28:29], v[24:25]
	v_mov_b32_e32 v30, v0
	s_mov_b32 s72, 0
	s_branch .LBB4_34
.LBB4_33:                               ;   in Loop: Header=BB4_34 Depth=2
	v_ashrrev_i32_e32 v31, 31, v30
	v_add_nc_u64_e32 v[28:29], s[40:41], v[28:29]
	s_delay_alu instid0(VALU_DEP_2)
	v_lshl_add_u64 v[34:35], v[30:31], 2, s[56:57]
	s_wait_xcnt 0x0
	v_add_nc_u32_e32 v30, s12, v30
	s_wait_loadcnt 0x0
	global_store_b32 v[34:35], v33, off
	v_cmp_le_i32_e32 vcc_lo, s15, v30
	s_or_b32 s72, vcc_lo, s72
	s_wait_xcnt 0x0
	s_and_not1_b32 exec_lo, exec_lo, s72
	s_cbranch_execz .LBB4_36
.LBB4_34:                               ;   Parent Loop BB4_4 Depth=1
                                        ; =>  This Loop Header: Depth=2
                                        ;       Child Loop BB4_35 Depth 3
	global_load_b32 v33, v30, s[56:57] scale_offset
	v_mov_b64_e32 v[34:35], v[28:29]
	s_and_not1_b32 vcc_lo, exec_lo, s87
	s_mov_b64 s[68:69], s[66:67]
	s_mov_b64 s[70:71], s[64:65]
	s_mov_b32 s73, s27
	s_cbranch_vccnz .LBB4_33
.LBB4_35:                               ;   Parent Loop BB4_4 Depth=1
                                        ;     Parent Loop BB4_34 Depth=2
                                        ; =>    This Inner Loop Header: Depth=3
	s_clause 0x1
	global_load_b32 v32, v1, s[70:71]
	global_load_b32 v37, v1, s[68:69]
	global_load_b32 v36, v[34:35], off
	s_wait_loadcnt 0x3
	v_mov_b32_e32 v38, v33
	s_add_co_i32 s73, s73, -1
	s_wait_xcnt 0x2
	s_add_nc_u64 s[70:71], s[70:71], -4
	s_cmp_lt_u32 s73, 3
	s_wait_xcnt 0x1
	s_add_nc_u64 s[68:69], s[68:69], -4
	s_wait_loadcnt 0x1
	v_mov_b32_e32 v39, v37
	s_wait_loadcnt 0x0
	v_pk_mul_f32 v[40:41], v[32:33], v[36:37]
	v_mov_b32_e32 v33, v36
	s_delay_alu instid0(VALU_DEP_2) | instskip(NEXT) | instid1(VALU_DEP_2)
	v_sub_f32_e32 v31, v40, v41
	v_pk_mul_f32 v[32:33], v[38:39], v[32:33]
	global_store_b32 v[34:35], v31, off
	s_wait_xcnt 0x0
	v_add_nc_u64_e32 v[34:35], s[44:45], v[34:35]
	v_add_f32_e32 v33, v32, v33
	s_cbranch_scc0 .LBB4_35
	s_branch .LBB4_33
.LBB4_36:                               ;   in Loop: Header=BB4_4 Depth=1
	s_or_b32 exec_lo, exec_lo, s47
.LBB4_37:                               ;   in Loop: Header=BB4_4 Depth=1
	s_mov_b32 s47, 0
.LBB4_38:                               ;   in Loop: Header=BB4_4 Depth=1
	s_delay_alu instid0(SALU_CYCLE_1)
	s_and_not1_b32 vcc_lo, exec_lo, s47
	s_cbranch_vccnz .LBB4_45
; %bb.39:                               ;   in Loop: Header=BB4_4 Depth=1
	s_and_saveexec_b32 s47, s0
	s_cbranch_execz .LBB4_44
; %bb.40:                               ;   in Loop: Header=BB4_4 Depth=1
	v_add_nc_u64_e32 v[28:29], s[62:63], v[8:9]
	v_mov_b32_e32 v30, v0
	s_mov_b32 s72, 0
	s_branch .LBB4_42
.LBB4_41:                               ;   in Loop: Header=BB4_42 Depth=2
	v_ashrrev_i32_e32 v31, 31, v30
	v_add_nc_u64_e32 v[28:29], s[40:41], v[28:29]
	s_delay_alu instid0(VALU_DEP_2)
	v_lshl_add_u64 v[34:35], v[30:31], 2, s[56:57]
	s_wait_xcnt 0x0
	v_add_nc_u32_e32 v30, s12, v30
	s_wait_loadcnt 0x0
	global_store_b32 v[34:35], v33, off
	v_cmp_le_i32_e32 vcc_lo, s15, v30
	s_or_b32 s72, vcc_lo, s72
	s_wait_xcnt 0x0
	s_and_not1_b32 exec_lo, exec_lo, s72
	s_cbranch_execz .LBB4_44
.LBB4_42:                               ;   Parent Loop BB4_4 Depth=1
                                        ; =>  This Loop Header: Depth=2
                                        ;       Child Loop BB4_43 Depth 3
	global_load_b32 v33, v30, s[56:57] scale_offset
	v_mov_b64_e32 v[34:35], v[28:29]
	s_and_not1_b32 vcc_lo, exec_lo, s87
	s_mov_b32 s73, s26
	s_mov_b64 s[68:69], s[52:53]
	s_mov_b64 s[70:71], s[54:55]
	s_cbranch_vccnz .LBB4_41
.LBB4_43:                               ;   Parent Loop BB4_4 Depth=1
                                        ;     Parent Loop BB4_42 Depth=2
                                        ; =>    This Inner Loop Header: Depth=3
	s_clause 0x1
	global_load_b32 v32, v1, s[68:69]
	global_load_b32 v37, v1, s[70:71]
	global_load_b32 v36, v[34:35], off
	s_wait_loadcnt 0x3
	v_mov_b32_e32 v38, v33
	s_add_co_i32 s73, s73, -1
	s_wait_xcnt 0x1
	s_add_nc_u64 s[70:71], s[70:71], 4
	s_cmp_eq_u32 s73, 0
	s_add_nc_u64 s[68:69], s[68:69], 4
	s_wait_loadcnt 0x1
	v_mov_b32_e32 v39, v37
	s_wait_loadcnt 0x0
	v_pk_mul_f32 v[40:41], v[32:33], v[36:37]
	v_mov_b32_e32 v33, v36
	s_delay_alu instid0(VALU_DEP_2) | instskip(NEXT) | instid1(VALU_DEP_2)
	v_sub_f32_e32 v31, v40, v41
	v_pk_mul_f32 v[32:33], v[38:39], v[32:33]
	global_store_b32 v[34:35], v31, off
	s_wait_xcnt 0x0
	v_add_nc_u64_e32 v[34:35], s[42:43], v[34:35]
	v_add_f32_e32 v33, v32, v33
	s_cbranch_scc0 .LBB4_43
	s_branch .LBB4_41
.LBB4_44:                               ;   in Loop: Header=BB4_4 Depth=1
	s_or_b32 exec_lo, exec_lo, s47
.LBB4_45:                               ;   in Loop: Header=BB4_4 Depth=1
	s_mov_b32 s47, 0
.LBB4_46:                               ;   in Loop: Header=BB4_4 Depth=1
	s_delay_alu instid0(SALU_CYCLE_1)
	s_and_not1_b32 vcc_lo, exec_lo, s47
	s_cbranch_vccnz .LBB4_54
; %bb.47:                               ;   in Loop: Header=BB4_4 Depth=1
	s_and_saveexec_b32 s47, s0
	s_cbranch_execz .LBB4_53
; %bb.48:                               ;   in Loop: Header=BB4_4 Depth=1
	v_mov_b32_e32 v28, v0
	s_lshl_b64 s[68:69], s[28:29], 2
	s_mov_b32 s89, 0
	s_add_nc_u64 s[68:69], s[56:57], s[68:69]
	s_branch .LBB4_50
.LBB4_49:                               ;   in Loop: Header=BB4_50 Depth=2
	s_wait_xcnt 0x0
	v_ashrrev_i32_e32 v29, 31, v28
	v_add_nc_u64_e32 v[24:25], s[40:41], v[24:25]
	v_add_nc_u64_e32 v[26:27], s[40:41], v[26:27]
	s_delay_alu instid0(VALU_DEP_3)
	v_lshl_add_u64 v[32:33], v[28:29], 2, s[56:57]
	v_add_nc_u32_e32 v28, s12, v28
	s_wait_loadcnt 0x0
	global_store_b32 v[32:33], v30, off
	v_cmp_le_i32_e32 vcc_lo, s15, v28
	s_or_b32 s89, vcc_lo, s89
	s_wait_xcnt 0x0
	s_and_not1_b32 exec_lo, exec_lo, s89
	s_cbranch_execz .LBB4_53
.LBB4_50:                               ;   Parent Loop BB4_4 Depth=1
                                        ; =>  This Loop Header: Depth=2
                                        ;       Child Loop BB4_52 Depth 3
	global_load_b32 v30, v28, s[68:69] scale_offset
	s_and_not1_b32 vcc_lo, exec_lo, s87
	s_cbranch_vccnz .LBB4_49
; %bb.51:                               ;   in Loop: Header=BB4_50 Depth=2
	s_mov_b64 s[70:71], 0
	s_mov_b64 s[72:73], s[66:67]
	;; [unrolled: 1-line block ×3, first 2 shown]
	s_mov_b32 s90, s26
.LBB4_52:                               ;   Parent Loop BB4_4 Depth=1
                                        ;     Parent Loop BB4_50 Depth=2
                                        ; =>    This Inner Loop Header: Depth=3
	s_wait_xcnt 0x0
	v_add_nc_u64_e32 v[32:33], s[70:71], v[26:27]
	s_add_co_i32 s90, s90, -1
	s_clause 0x1
	global_load_b32 v34, v1, s[74:75]
	global_load_b32 v31, v1, s[72:73]
	global_load_b32 v35, v[32:33], off
	s_wait_loadcnt 0x3
	s_wait_xcnt 0x0
	v_mov_b32_e32 v32, v30
	s_add_nc_u64 s[74:75], s[74:75], -4
	s_cmp_eq_u32 s90, 0
	s_add_nc_u64 s[72:73], s[72:73], -4
	s_wait_loadcnt 0x2
	v_mov_b32_e32 v33, v34
	s_wait_loadcnt 0x0
	v_pk_mul_f32 v[36:37], v[30:31], v[34:35]
	s_delay_alu instid0(VALU_DEP_1) | instskip(NEXT) | instid1(VALU_DEP_1)
	v_dual_mov_b32 v34, v31 :: v_dual_sub_f32 v29, v36, v37
	v_pk_mul_f32 v[30:31], v[32:33], v[34:35]
	v_add_nc_u64_e32 v[32:33], s[70:71], v[24:25]
	s_sub_nc_u64 s[70:71], s[70:71], s[42:43]
	s_delay_alu instid0(VALU_DEP_2)
	v_add_f32_e32 v30, v30, v31
	global_store_b32 v[32:33], v29, off
	s_cbranch_scc0 .LBB4_52
	s_branch .LBB4_49
.LBB4_53:                               ;   in Loop: Header=BB4_4 Depth=1
	s_or_b32 exec_lo, exec_lo, s47
.LBB4_54:                               ;   in Loop: Header=BB4_4 Depth=1
	s_mov_b32 s47, 0
.LBB4_55:                               ;   in Loop: Header=BB4_4 Depth=1
	s_delay_alu instid0(SALU_CYCLE_1)
	s_and_not1_b32 vcc_lo, exec_lo, s47
	s_cbranch_vccnz .LBB4_62
; %bb.56:                               ;   in Loop: Header=BB4_4 Depth=1
	s_and_saveexec_b32 s47, s0
	s_cbranch_execz .LBB4_61
; %bb.57:                               ;   in Loop: Header=BB4_4 Depth=1
	v_mov_b32_e32 v24, v0
	s_lshl_b64 s[64:65], s[28:29], 2
	s_mov_b32 s70, 0
	s_add_nc_u64 s[64:65], s[56:57], s[64:65]
	s_branch .LBB4_59
.LBB4_58:                               ;   in Loop: Header=BB4_59 Depth=2
	v_ashrrev_i32_e32 v25, 31, v24
	v_add_nc_u64_e32 v[22:23], s[40:41], v[22:23]
	s_delay_alu instid0(VALU_DEP_2)
	v_lshl_add_u64 v[28:29], v[24:25], 2, s[64:65]
	s_wait_xcnt 0x0
	v_add_nc_u32_e32 v24, s12, v24
	s_wait_loadcnt 0x0
	global_store_b32 v[28:29], v26, off
	v_cmp_le_i32_e32 vcc_lo, s15, v24
	s_or_b32 s70, vcc_lo, s70
	s_wait_xcnt 0x0
	s_and_not1_b32 exec_lo, exec_lo, s70
	s_cbranch_execz .LBB4_61
.LBB4_59:                               ;   Parent Loop BB4_4 Depth=1
                                        ; =>  This Loop Header: Depth=2
                                        ;       Child Loop BB4_60 Depth 3
	global_load_b32 v26, v24, s[56:57] scale_offset
	v_mov_b64_e32 v[28:29], v[22:23]
	s_and_not1_b32 vcc_lo, exec_lo, s87
	s_mov_b64 s[66:67], s[54:55]
	s_mov_b64 s[68:69], s[52:53]
	s_mov_b32 s71, s26
	s_cbranch_vccnz .LBB4_58
.LBB4_60:                               ;   Parent Loop BB4_4 Depth=1
                                        ;     Parent Loop BB4_59 Depth=2
                                        ; =>    This Inner Loop Header: Depth=3
	s_delay_alu instid0(VALU_DEP_1)
	v_add_nc_u64_e32 v[30:31], s[42:43], v[28:29]
	s_add_co_i32 s71, s71, -1
	s_clause 0x1
	global_load_b32 v32, v1, s[68:69]
	global_load_b32 v27, v1, s[66:67]
	global_load_b32 v33, v[30:31], off
	s_wait_loadcnt 0x3
	v_mov_b32_e32 v35, v26
	s_wait_xcnt 0x2
	s_add_nc_u64 s[68:69], s[68:69], 4
	s_cmp_eq_u32 s71, 0
	s_wait_xcnt 0x1
	s_add_nc_u64 s[66:67], s[66:67], 4
	s_wait_loadcnt 0x2
	v_mov_b32_e32 v34, v32
	s_wait_loadcnt 0x0
	v_pk_mul_f32 v[36:37], v[26:27], v[32:33]
	s_delay_alu instid0(VALU_DEP_1) | instskip(NEXT) | instid1(VALU_DEP_1)
	v_dual_mov_b32 v26, v33 :: v_dual_add_f32 v25, v36, v37
	v_pk_mul_f32 v[26:27], v[34:35], v[26:27]
	global_store_b32 v[28:29], v25, off
	s_wait_xcnt 0x0
	v_mov_b64_e32 v[28:29], v[30:31]
	v_sub_f32_e32 v26, v26, v27
	s_cbranch_scc0 .LBB4_60
	s_branch .LBB4_58
.LBB4_61:                               ;   in Loop: Header=BB4_4 Depth=1
	s_or_b32 exec_lo, exec_lo, s47
.LBB4_62:                               ;   in Loop: Header=BB4_4 Depth=1
	s_mov_b32 s47, 0
.LBB4_63:                               ;   in Loop: Header=BB4_4 Depth=1
	s_delay_alu instid0(SALU_CYCLE_1)
	s_and_not1_b32 vcc_lo, exec_lo, s47
	s_cbranch_vccnz .LBB4_70
; %bb.64:                               ;   in Loop: Header=BB4_4 Depth=1
	s_and_saveexec_b32 s47, s1
	s_cbranch_execz .LBB4_69
; %bb.65:                               ;   in Loop: Header=BB4_4 Depth=1
	v_add_nc_u64_e32 v[22:23], s[62:63], v[12:13]
	v_mov_b32_e32 v24, v0
	s_lshl_b64 s[64:65], s[30:31], 2
	s_mov_b32 s70, 0
	s_add_nc_u64 s[64:65], s[56:57], s[64:65]
	s_branch .LBB4_67
.LBB4_66:                               ;   in Loop: Header=BB4_67 Depth=2
	v_add_nc_u32_e32 v24, s12, v24
	v_add_nc_u64_e32 v[22:23], s[50:51], v[22:23]
	s_wait_loadcnt 0x0
	global_store_b32 v[26:27], v28, off offset:-4
	v_cmp_le_i32_e32 vcc_lo, s23, v24
	s_or_b32 s70, vcc_lo, s70
	s_wait_xcnt 0x0
	s_and_not1_b32 exec_lo, exec_lo, s70
	s_cbranch_execz .LBB4_69
.LBB4_67:                               ;   Parent Loop BB4_4 Depth=1
                                        ; =>  This Loop Header: Depth=2
                                        ;       Child Loop BB4_68 Depth 3
	v_ashrrev_i32_e32 v25, 31, v24
	v_mov_b64_e32 v[30:31], v[22:23]
	s_and_not1_b32 vcc_lo, exec_lo, s88
	s_mov_b64 s[66:67], s[60:61]
	s_mov_b64 s[68:69], s[58:59]
	v_mul_u64_e32 v[26:27], s[20:21], v[24:25]
	s_mov_b32 s71, s46
	s_delay_alu instid0(VALU_DEP_1)
	v_lshl_add_u64 v[26:27], v[26:27], 2, s[64:65]
	global_load_b32 v28, v[26:27], off offset:-4
	s_cbranch_vccnz .LBB4_66
.LBB4_68:                               ;   Parent Loop BB4_4 Depth=1
                                        ;     Parent Loop BB4_67 Depth=2
                                        ; =>    This Inner Loop Header: Depth=3
	s_clause 0x1
	global_load_b32 v29, v1, s[68:69]
	global_load_b32 v32, v1, s[66:67]
	global_load_b32 v33, v[30:31], off
	s_wait_loadcnt 0x3
	v_mov_b32_e32 v34, v28
	s_add_co_i32 s71, s71, -1
	s_wait_xcnt 0x2
	s_add_nc_u64 s[68:69], s[68:69], -4
	s_cmp_eq_u32 s71, 0
	s_wait_xcnt 0x1
	s_add_nc_u64 s[66:67], s[66:67], -4
	s_wait_loadcnt 0x1
	v_mov_b32_e32 v35, v32
	s_wait_loadcnt 0x0
	v_pk_mul_f32 v[36:37], v[28:29], v[32:33]
	s_delay_alu instid0(VALU_DEP_1) | instskip(NEXT) | instid1(VALU_DEP_1)
	v_dual_mov_b32 v32, v29 :: v_dual_add_f32 v25, v36, v37
	v_pk_mul_f32 v[28:29], v[34:35], v[32:33]
	global_store_b32 v[30:31], v25, off
	s_wait_xcnt 0x0
	v_add_nc_u64_e32 v[30:31], -4, v[30:31]
	v_sub_f32_e32 v28, v28, v29
	s_cbranch_scc0 .LBB4_68
	s_branch .LBB4_66
.LBB4_69:                               ;   in Loop: Header=BB4_4 Depth=1
	s_or_b32 exec_lo, exec_lo, s47
.LBB4_70:                               ;   in Loop: Header=BB4_4 Depth=1
	s_mov_b32 s47, 0
.LBB4_71:                               ;   in Loop: Header=BB4_4 Depth=1
	s_delay_alu instid0(SALU_CYCLE_1)
	s_and_not1_b32 vcc_lo, exec_lo, s47
	s_cbranch_vccnz .LBB4_78
; %bb.72:                               ;   in Loop: Header=BB4_4 Depth=1
	s_and_saveexec_b32 s47, s1
	s_cbranch_execz .LBB4_77
; %bb.73:                               ;   in Loop: Header=BB4_4 Depth=1
	v_add_nc_u64_e32 v[22:23], s[62:63], v[10:11]
	v_mov_b32_e32 v24, v0
	s_lshl_b64 s[64:65], s[30:31], 2
	s_mov_b32 s70, 0
	s_add_nc_u64 s[64:65], s[56:57], s[64:65]
	s_branch .LBB4_75
.LBB4_74:                               ;   in Loop: Header=BB4_75 Depth=2
	v_add_nc_u32_e32 v24, s12, v24
	v_add_nc_u64_e32 v[22:23], s[50:51], v[22:23]
	s_wait_loadcnt 0x0
	global_store_b32 v[26:27], v28, off offset:-4
	v_cmp_le_i32_e32 vcc_lo, s23, v24
	s_or_b32 s70, vcc_lo, s70
	s_wait_xcnt 0x0
	s_and_not1_b32 exec_lo, exec_lo, s70
	s_cbranch_execz .LBB4_77
.LBB4_75:                               ;   Parent Loop BB4_4 Depth=1
                                        ; =>  This Loop Header: Depth=2
                                        ;       Child Loop BB4_76 Depth 3
	v_ashrrev_i32_e32 v25, 31, v24
	v_mov_b64_e32 v[30:31], v[22:23]
	s_and_not1_b32 vcc_lo, exec_lo, s88
	s_mov_b64 s[66:67], s[54:55]
	s_mov_b64 s[68:69], s[52:53]
	v_mul_u64_e32 v[26:27], s[20:21], v[24:25]
	s_mov_b32 s71, s46
	s_delay_alu instid0(VALU_DEP_1)
	v_lshl_add_u64 v[26:27], v[26:27], 2, s[64:65]
	global_load_b32 v28, v[26:27], off offset:-4
	s_cbranch_vccnz .LBB4_74
.LBB4_76:                               ;   Parent Loop BB4_4 Depth=1
                                        ;     Parent Loop BB4_75 Depth=2
                                        ; =>    This Inner Loop Header: Depth=3
	s_clause 0x1
	global_load_b32 v29, v1, s[68:69]
	global_load_b32 v32, v1, s[66:67]
	global_load_b32 v33, v[30:31], off
	s_wait_loadcnt 0x3
	v_mov_b32_e32 v34, v28
	s_add_co_i32 s71, s71, -1
	s_wait_xcnt 0x2
	s_add_nc_u64 s[68:69], s[68:69], 4
	s_cmp_eq_u32 s71, 0
	s_wait_xcnt 0x1
	s_add_nc_u64 s[66:67], s[66:67], 4
	s_wait_loadcnt 0x1
	v_mov_b32_e32 v35, v32
	s_wait_loadcnt 0x0
	v_pk_mul_f32 v[36:37], v[28:29], v[32:33]
	s_delay_alu instid0(VALU_DEP_1) | instskip(NEXT) | instid1(VALU_DEP_1)
	v_dual_mov_b32 v32, v29 :: v_dual_add_f32 v25, v36, v37
	v_pk_mul_f32 v[28:29], v[34:35], v[32:33]
	global_store_b32 v[30:31], v25, off
	s_wait_xcnt 0x0
	v_add_nc_u64_e32 v[30:31], 4, v[30:31]
	v_sub_f32_e32 v28, v28, v29
	s_cbranch_scc0 .LBB4_76
	s_branch .LBB4_74
.LBB4_77:                               ;   in Loop: Header=BB4_4 Depth=1
	s_or_b32 exec_lo, exec_lo, s47
.LBB4_78:                               ;   in Loop: Header=BB4_4 Depth=1
	s_mov_b32 s47, 0
.LBB4_79:                               ;   in Loop: Header=BB4_4 Depth=1
	s_delay_alu instid0(SALU_CYCLE_1)
	s_and_not1_b32 vcc_lo, exec_lo, s47
	s_cbranch_vccnz .LBB4_86
; %bb.80:                               ;   in Loop: Header=BB4_4 Depth=1
	s_and_saveexec_b32 s47, s1
	s_cbranch_execz .LBB4_85
; %bb.81:                               ;   in Loop: Header=BB4_4 Depth=1
	v_add_nc_u64_e32 v[22:23], s[62:63], v[14:15]
	v_mov_b32_e32 v24, v0
	s_mov_b32 s68, 0
	s_branch .LBB4_83
.LBB4_82:                               ;   in Loop: Header=BB4_83 Depth=2
	v_add_nc_u32_e32 v24, s12, v24
	v_add_nc_u64_e32 v[22:23], s[50:51], v[22:23]
	s_wait_loadcnt 0x0
	global_store_b32 v[26:27], v29, off
	v_cmp_le_i32_e32 vcc_lo, s23, v24
	s_or_b32 s68, vcc_lo, s68
	s_wait_xcnt 0x0
	s_and_not1_b32 exec_lo, exec_lo, s68
	s_cbranch_execz .LBB4_85
.LBB4_83:                               ;   Parent Loop BB4_4 Depth=1
                                        ; =>  This Loop Header: Depth=2
                                        ;       Child Loop BB4_84 Depth 3
	s_delay_alu instid0(VALU_DEP_1) | instskip(NEXT) | instid1(VALU_DEP_3)
	v_ashrrev_i32_e32 v25, 31, v24
	v_mov_b64_e32 v[30:31], v[22:23]
	s_and_not1_b32 vcc_lo, exec_lo, s88
	s_mov_b64 s[64:65], s[60:61]
	s_mov_b64 s[66:67], s[58:59]
	v_mul_u64_e32 v[26:27], s[20:21], v[24:25]
	s_mov_b32 s69, s13
	s_delay_alu instid0(VALU_DEP_1)
	v_lshl_add_u64 v[26:27], v[26:27], 2, s[56:57]
	global_load_b32 v29, v[26:27], off
	s_cbranch_vccnz .LBB4_82
.LBB4_84:                               ;   Parent Loop BB4_4 Depth=1
                                        ;     Parent Loop BB4_83 Depth=2
                                        ; =>    This Inner Loop Header: Depth=3
	s_clause 0x1
	global_load_b32 v28, v1, s[66:67]
	global_load_b32 v33, v1, s[64:65]
	global_load_b32 v32, v[30:31], off
	s_wait_loadcnt 0x3
	v_mov_b32_e32 v34, v29
	s_add_co_i32 s69, s69, -1
	s_wait_xcnt 0x2
	s_add_nc_u64 s[66:67], s[66:67], -4
	s_cmp_lt_u32 s69, 3
	s_wait_xcnt 0x1
	s_add_nc_u64 s[64:65], s[64:65], -4
	s_wait_loadcnt 0x1
	v_mov_b32_e32 v35, v33
	s_wait_loadcnt 0x0
	v_pk_mul_f32 v[36:37], v[28:29], v[32:33]
	v_mov_b32_e32 v29, v32
	s_delay_alu instid0(VALU_DEP_2) | instskip(NEXT) | instid1(VALU_DEP_2)
	v_sub_f32_e32 v25, v36, v37
	v_pk_mul_f32 v[28:29], v[34:35], v[28:29]
	global_store_b32 v[30:31], v25, off
	s_wait_xcnt 0x0
	v_add_nc_u64_e32 v[30:31], -4, v[30:31]
	v_add_f32_e32 v29, v28, v29
	s_cbranch_scc0 .LBB4_84
	s_branch .LBB4_82
.LBB4_85:                               ;   in Loop: Header=BB4_4 Depth=1
	s_or_b32 exec_lo, exec_lo, s47
.LBB4_86:                               ;   in Loop: Header=BB4_4 Depth=1
	s_mov_b32 s47, 0
.LBB4_87:                               ;   in Loop: Header=BB4_4 Depth=1
	s_delay_alu instid0(SALU_CYCLE_1)
	s_and_not1_b32 vcc_lo, exec_lo, s47
	s_cbranch_vccnz .LBB4_94
; %bb.88:                               ;   in Loop: Header=BB4_4 Depth=1
	s_and_saveexec_b32 s47, s1
	s_cbranch_execz .LBB4_93
; %bb.89:                               ;   in Loop: Header=BB4_4 Depth=1
	v_mov_b64_e32 v[22:23], v[20:21]
	v_mov_b32_e32 v24, v0
	s_mov_b32 s68, 0
	s_branch .LBB4_91
.LBB4_90:                               ;   in Loop: Header=BB4_91 Depth=2
	v_add_nc_u32_e32 v24, s12, v24
	v_add_nc_u64_e32 v[22:23], s[50:51], v[22:23]
	s_wait_loadcnt 0x0
	global_store_b32 v[26:27], v29, off
	v_cmp_le_i32_e32 vcc_lo, s23, v24
	s_or_b32 s68, vcc_lo, s68
	s_wait_xcnt 0x0
	s_and_not1_b32 exec_lo, exec_lo, s68
	s_cbranch_execz .LBB4_93
.LBB4_91:                               ;   Parent Loop BB4_4 Depth=1
                                        ; =>  This Loop Header: Depth=2
                                        ;       Child Loop BB4_92 Depth 3
	s_delay_alu instid0(VALU_DEP_1) | instskip(NEXT) | instid1(VALU_DEP_3)
	v_ashrrev_i32_e32 v25, 31, v24
	v_mov_b64_e32 v[30:31], v[22:23]
	s_and_not1_b32 vcc_lo, exec_lo, s88
	s_mov_b32 s69, s46
	s_mov_b64 s[64:65], s[52:53]
	v_mul_u64_e32 v[26:27], s[20:21], v[24:25]
	s_mov_b64 s[66:67], s[54:55]
	s_delay_alu instid0(VALU_DEP_1)
	v_lshl_add_u64 v[26:27], v[26:27], 2, s[56:57]
	global_load_b32 v29, v[26:27], off
	s_cbranch_vccnz .LBB4_90
.LBB4_92:                               ;   Parent Loop BB4_4 Depth=1
                                        ;     Parent Loop BB4_91 Depth=2
                                        ; =>    This Inner Loop Header: Depth=3
	s_clause 0x1
	global_load_b32 v28, v1, s[64:65]
	global_load_b32 v33, v1, s[66:67]
	global_load_b32 v32, v[30:31], off
	s_wait_loadcnt 0x3
	v_mov_b32_e32 v34, v29
	s_add_co_i32 s69, s69, -1
	s_wait_xcnt 0x1
	s_add_nc_u64 s[66:67], s[66:67], 4
	s_cmp_eq_u32 s69, 0
	s_add_nc_u64 s[64:65], s[64:65], 4
	s_wait_loadcnt 0x1
	v_mov_b32_e32 v35, v33
	s_wait_loadcnt 0x0
	v_pk_mul_f32 v[36:37], v[28:29], v[32:33]
	v_mov_b32_e32 v29, v32
	s_delay_alu instid0(VALU_DEP_2) | instskip(NEXT) | instid1(VALU_DEP_2)
	v_sub_f32_e32 v25, v36, v37
	v_pk_mul_f32 v[28:29], v[34:35], v[28:29]
	global_store_b32 v[30:31], v25, off
	s_wait_xcnt 0x0
	v_add_nc_u64_e32 v[30:31], 4, v[30:31]
	v_add_f32_e32 v29, v28, v29
	s_cbranch_scc0 .LBB4_92
	s_branch .LBB4_90
.LBB4_93:                               ;   in Loop: Header=BB4_4 Depth=1
	s_or_b32 exec_lo, exec_lo, s47
.LBB4_94:                               ;   in Loop: Header=BB4_4 Depth=1
	s_mov_b32 s47, 0
.LBB4_95:                               ;   in Loop: Header=BB4_4 Depth=1
	s_delay_alu instid0(SALU_CYCLE_1)
	s_and_not1_b32 vcc_lo, exec_lo, s47
	s_cbranch_vccnz .LBB4_102
; %bb.96:                               ;   in Loop: Header=BB4_4 Depth=1
	s_and_saveexec_b32 s47, s1
	s_cbranch_execz .LBB4_101
; %bb.97:                               ;   in Loop: Header=BB4_4 Depth=1
	v_add_nc_u64_e32 v[22:23], s[62:63], v[18:19]
	v_mov_b32_e32 v24, v0
	s_lshl_b64 s[62:63], s[30:31], 2
	s_mov_b32 s68, 0
	s_add_nc_u64 s[62:63], s[56:57], s[62:63]
	s_branch .LBB4_99
.LBB4_98:                               ;   in Loop: Header=BB4_99 Depth=2
	v_add_nc_u32_e32 v24, s12, v24
	v_add_nc_u64_e32 v[22:23], s[50:51], v[22:23]
	v_lshl_add_u64 v[26:27], v[26:27], 2, s[56:57]
	s_delay_alu instid0(VALU_DEP_3)
	v_cmp_le_i32_e32 vcc_lo, s23, v24
	s_wait_loadcnt 0x0
	global_store_b32 v[26:27], v28, off
	s_or_b32 s68, vcc_lo, s68
	s_wait_xcnt 0x0
	s_and_not1_b32 exec_lo, exec_lo, s68
	s_cbranch_execz .LBB4_101
.LBB4_99:                               ;   Parent Loop BB4_4 Depth=1
                                        ; =>  This Loop Header: Depth=2
                                        ;       Child Loop BB4_100 Depth 3
	v_ashrrev_i32_e32 v25, 31, v24
	v_mov_b64_e32 v[30:31], v[22:23]
	s_and_not1_b32 vcc_lo, exec_lo, s88
	s_mov_b64 s[64:65], s[60:61]
	s_mov_b64 s[66:67], s[58:59]
	v_mul_u64_e32 v[26:27], s[20:21], v[24:25]
	s_mov_b32 s69, s46
	s_delay_alu instid0(VALU_DEP_1)
	v_lshl_add_u64 v[28:29], v[26:27], 2, s[62:63]
	global_load_b32 v28, v[28:29], off offset:-4
	s_cbranch_vccnz .LBB4_98
.LBB4_100:                              ;   Parent Loop BB4_4 Depth=1
                                        ;     Parent Loop BB4_99 Depth=2
                                        ; =>    This Inner Loop Header: Depth=3
	s_clause 0x1
	global_load_b32 v32, v1, s[66:67]
	global_load_b32 v29, v1, s[64:65]
	global_load_b32 v33, v[30:31], off offset:-4
	s_wait_loadcnt 0x3
	v_mov_b32_e32 v34, v28
	v_add_nc_u64_e32 v[38:39], -4, v[30:31]
	s_add_co_i32 s69, s69, -1
	s_wait_xcnt 0x2
	s_add_nc_u64 s[66:67], s[66:67], -4
	s_cmp_eq_u32 s69, 0
	s_wait_xcnt 0x1
	s_add_nc_u64 s[64:65], s[64:65], -4
	s_wait_loadcnt 0x2
	v_mov_b32_e32 v35, v32
	s_wait_loadcnt 0x0
	v_pk_mul_f32 v[36:37], v[28:29], v[32:33]
	s_delay_alu instid0(VALU_DEP_1) | instskip(NEXT) | instid1(VALU_DEP_1)
	v_dual_mov_b32 v32, v29 :: v_dual_sub_f32 v25, v36, v37
	v_pk_mul_f32 v[28:29], v[34:35], v[32:33]
	global_store_b32 v[30:31], v25, off
	s_wait_xcnt 0x0
	v_mov_b64_e32 v[30:31], v[38:39]
	v_add_f32_e32 v28, v28, v29
	s_cbranch_scc0 .LBB4_100
	s_branch .LBB4_98
.LBB4_101:                              ;   in Loop: Header=BB4_4 Depth=1
	s_or_b32 exec_lo, exec_lo, s47
.LBB4_102:                              ;   in Loop: Header=BB4_4 Depth=1
	s_cbranch_execnz .LBB4_3
.LBB4_103:                              ;   in Loop: Header=BB4_4 Depth=1
	s_and_saveexec_b32 s47, s1
	s_cbranch_execz .LBB4_2
; %bb.104:                              ;   in Loop: Header=BB4_4 Depth=1
	v_mov_b32_e32 v22, v0
	s_lshl_b64 s[58:59], s[30:31], 2
	s_mov_b32 s64, 0
	s_add_nc_u64 s[58:59], s[56:57], s[58:59]
	s_branch .LBB4_106
.LBB4_105:                              ;   in Loop: Header=BB4_106 Depth=2
	v_add_nc_u32_e32 v22, s12, v22
	v_add_nc_u64_e32 v[20:21], s[50:51], v[20:21]
	v_lshl_add_u64 v[24:25], v[24:25], 2, s[58:59]
	s_delay_alu instid0(VALU_DEP_3)
	v_cmp_le_i32_e32 vcc_lo, s23, v22
	s_wait_loadcnt 0x0
	global_store_b32 v[24:25], v26, off offset:-4
	s_or_b32 s64, vcc_lo, s64
	s_wait_xcnt 0x0
	s_and_not1_b32 exec_lo, exec_lo, s64
	s_cbranch_execz .LBB4_2
.LBB4_106:                              ;   Parent Loop BB4_4 Depth=1
                                        ; =>  This Loop Header: Depth=2
                                        ;       Child Loop BB4_107 Depth 3
	v_ashrrev_i32_e32 v23, 31, v22
	v_mov_b64_e32 v[28:29], v[20:21]
	s_and_not1_b32 vcc_lo, exec_lo, s88
	s_mov_b64 s[60:61], s[54:55]
	s_mov_b64 s[62:63], s[52:53]
	v_mul_u64_e32 v[24:25], s[20:21], v[22:23]
	s_mov_b32 s65, s46
	s_delay_alu instid0(VALU_DEP_1)
	v_lshl_add_u64 v[26:27], v[24:25], 2, s[56:57]
	global_load_b32 v26, v[26:27], off
	s_cbranch_vccnz .LBB4_105
.LBB4_107:                              ;   Parent Loop BB4_4 Depth=1
                                        ;     Parent Loop BB4_106 Depth=2
                                        ; =>    This Inner Loop Header: Depth=3
	s_clause 0x1
	global_load_b32 v30, v1, s[62:63]
	global_load_b32 v27, v1, s[60:61]
	global_load_b32 v31, v[28:29], off
	s_wait_loadcnt 0x3
	v_mov_b32_e32 v33, v26
	s_add_co_i32 s65, s65, -1
	s_wait_xcnt 0x2
	s_add_nc_u64 s[62:63], s[62:63], 4
	s_cmp_eq_u32 s65, 0
	s_wait_xcnt 0x1
	s_add_nc_u64 s[60:61], s[60:61], 4
	s_wait_loadcnt 0x2
	v_mov_b32_e32 v32, v30
	s_wait_loadcnt 0x0
	v_pk_mul_f32 v[34:35], v[26:27], v[30:31]
	s_delay_alu instid0(VALU_DEP_1) | instskip(NEXT) | instid1(VALU_DEP_1)
	v_dual_mov_b32 v26, v31 :: v_dual_add_f32 v23, v34, v35
	v_pk_mul_f32 v[26:27], v[32:33], v[26:27]
	global_store_b32 v[28:29], v23, off offset:-4
	s_wait_xcnt 0x0
	v_add_nc_u64_e32 v[28:29], 4, v[28:29]
	v_sub_f32_e32 v26, v26, v27
	s_cbranch_scc0 .LBB4_107
	s_branch .LBB4_105
.LBB4_108:
	s_endpgm
	.section	.rodata,"a",@progbits
	.p2align	6, 0x0
	.amdhsa_kernel _ZN9rocsolver6v33100L11lasr_kernelIffPfiEEv13rocblas_side_14rocblas_pivot_15rocblas_direct_T2_S6_PT0_lS8_lT1_lS6_lS6_
		.amdhsa_group_segment_fixed_size 0
		.amdhsa_private_segment_fixed_size 0
		.amdhsa_kernarg_size 352
		.amdhsa_user_sgpr_count 2
		.amdhsa_user_sgpr_dispatch_ptr 0
		.amdhsa_user_sgpr_queue_ptr 0
		.amdhsa_user_sgpr_kernarg_segment_ptr 1
		.amdhsa_user_sgpr_dispatch_id 0
		.amdhsa_user_sgpr_kernarg_preload_length 0
		.amdhsa_user_sgpr_kernarg_preload_offset 0
		.amdhsa_user_sgpr_private_segment_size 0
		.amdhsa_wavefront_size32 1
		.amdhsa_uses_dynamic_stack 0
		.amdhsa_enable_private_segment 0
		.amdhsa_system_sgpr_workgroup_id_x 1
		.amdhsa_system_sgpr_workgroup_id_y 0
		.amdhsa_system_sgpr_workgroup_id_z 1
		.amdhsa_system_sgpr_workgroup_info 0
		.amdhsa_system_vgpr_workitem_id 0
		.amdhsa_next_free_vgpr 42
		.amdhsa_next_free_sgpr 91
		.amdhsa_named_barrier_count 0
		.amdhsa_reserve_vcc 1
		.amdhsa_float_round_mode_32 0
		.amdhsa_float_round_mode_16_64 0
		.amdhsa_float_denorm_mode_32 3
		.amdhsa_float_denorm_mode_16_64 3
		.amdhsa_fp16_overflow 0
		.amdhsa_memory_ordered 1
		.amdhsa_forward_progress 1
		.amdhsa_inst_pref_size 35
		.amdhsa_round_robin_scheduling 0
		.amdhsa_exception_fp_ieee_invalid_op 0
		.amdhsa_exception_fp_denorm_src 0
		.amdhsa_exception_fp_ieee_div_zero 0
		.amdhsa_exception_fp_ieee_overflow 0
		.amdhsa_exception_fp_ieee_underflow 0
		.amdhsa_exception_fp_ieee_inexact 0
		.amdhsa_exception_int_div_zero 0
	.end_amdhsa_kernel
	.section	.text._ZN9rocsolver6v33100L11lasr_kernelIffPfiEEv13rocblas_side_14rocblas_pivot_15rocblas_direct_T2_S6_PT0_lS8_lT1_lS6_lS6_,"axG",@progbits,_ZN9rocsolver6v33100L11lasr_kernelIffPfiEEv13rocblas_side_14rocblas_pivot_15rocblas_direct_T2_S6_PT0_lS8_lT1_lS6_lS6_,comdat
.Lfunc_end4:
	.size	_ZN9rocsolver6v33100L11lasr_kernelIffPfiEEv13rocblas_side_14rocblas_pivot_15rocblas_direct_T2_S6_PT0_lS8_lT1_lS6_lS6_, .Lfunc_end4-_ZN9rocsolver6v33100L11lasr_kernelIffPfiEEv13rocblas_side_14rocblas_pivot_15rocblas_direct_T2_S6_PT0_lS8_lT1_lS6_lS6_
                                        ; -- End function
	.set _ZN9rocsolver6v33100L11lasr_kernelIffPfiEEv13rocblas_side_14rocblas_pivot_15rocblas_direct_T2_S6_PT0_lS8_lT1_lS6_lS6_.num_vgpr, 42
	.set _ZN9rocsolver6v33100L11lasr_kernelIffPfiEEv13rocblas_side_14rocblas_pivot_15rocblas_direct_T2_S6_PT0_lS8_lT1_lS6_lS6_.num_agpr, 0
	.set _ZN9rocsolver6v33100L11lasr_kernelIffPfiEEv13rocblas_side_14rocblas_pivot_15rocblas_direct_T2_S6_PT0_lS8_lT1_lS6_lS6_.numbered_sgpr, 91
	.set _ZN9rocsolver6v33100L11lasr_kernelIffPfiEEv13rocblas_side_14rocblas_pivot_15rocblas_direct_T2_S6_PT0_lS8_lT1_lS6_lS6_.num_named_barrier, 0
	.set _ZN9rocsolver6v33100L11lasr_kernelIffPfiEEv13rocblas_side_14rocblas_pivot_15rocblas_direct_T2_S6_PT0_lS8_lT1_lS6_lS6_.private_seg_size, 0
	.set _ZN9rocsolver6v33100L11lasr_kernelIffPfiEEv13rocblas_side_14rocblas_pivot_15rocblas_direct_T2_S6_PT0_lS8_lT1_lS6_lS6_.uses_vcc, 1
	.set _ZN9rocsolver6v33100L11lasr_kernelIffPfiEEv13rocblas_side_14rocblas_pivot_15rocblas_direct_T2_S6_PT0_lS8_lT1_lS6_lS6_.uses_flat_scratch, 0
	.set _ZN9rocsolver6v33100L11lasr_kernelIffPfiEEv13rocblas_side_14rocblas_pivot_15rocblas_direct_T2_S6_PT0_lS8_lT1_lS6_lS6_.has_dyn_sized_stack, 0
	.set _ZN9rocsolver6v33100L11lasr_kernelIffPfiEEv13rocblas_side_14rocblas_pivot_15rocblas_direct_T2_S6_PT0_lS8_lT1_lS6_lS6_.has_recursion, 0
	.set _ZN9rocsolver6v33100L11lasr_kernelIffPfiEEv13rocblas_side_14rocblas_pivot_15rocblas_direct_T2_S6_PT0_lS8_lT1_lS6_lS6_.has_indirect_call, 0
	.section	.AMDGPU.csdata,"",@progbits
; Kernel info:
; codeLenInByte = 4396
; TotalNumSgprs: 93
; NumVgprs: 42
; ScratchSize: 0
; MemoryBound: 0
; FloatMode: 240
; IeeeMode: 1
; LDSByteSize: 0 bytes/workgroup (compile time only)
; SGPRBlocks: 0
; VGPRBlocks: 2
; NumSGPRsForWavesPerEU: 93
; NumVGPRsForWavesPerEU: 42
; NamedBarCnt: 0
; Occupancy: 16
; WaveLimiterHint : 0
; COMPUTE_PGM_RSRC2:SCRATCH_EN: 0
; COMPUTE_PGM_RSRC2:USER_SGPR: 2
; COMPUTE_PGM_RSRC2:TRAP_HANDLER: 0
; COMPUTE_PGM_RSRC2:TGID_X_EN: 1
; COMPUTE_PGM_RSRC2:TGID_Y_EN: 0
; COMPUTE_PGM_RSRC2:TGID_Z_EN: 1
; COMPUTE_PGM_RSRC2:TIDIG_COMP_CNT: 0
	.section	.text._ZN9rocsolver6v33100L11swap_kernelIfiEEvT0_PT_S2_S4_S2_,"axG",@progbits,_ZN9rocsolver6v33100L11swap_kernelIfiEEvT0_PT_S2_S4_S2_,comdat
	.globl	_ZN9rocsolver6v33100L11swap_kernelIfiEEvT0_PT_S2_S4_S2_ ; -- Begin function _ZN9rocsolver6v33100L11swap_kernelIfiEEvT0_PT_S2_S4_S2_
	.p2align	8
	.type	_ZN9rocsolver6v33100L11swap_kernelIfiEEvT0_PT_S2_S4_S2_,@function
_ZN9rocsolver6v33100L11swap_kernelIfiEEvT0_PT_S2_S4_S2_: ; @_ZN9rocsolver6v33100L11swap_kernelIfiEEvT0_PT_S2_S4_S2_
; %bb.0:
	s_load_b32 s12, s[0:1], 0x0
	s_wait_kmcnt 0x0
	s_cmp_lt_i32 s12, 1
	s_cbranch_scc1 .LBB5_10
; %bb.1:
	s_clause 0x2
	s_load_b32 s2, s[0:1], 0x34
	s_load_b96 s[4:6], s[0:1], 0x8
	s_load_b96 s[8:10], s[0:1], 0x18
	s_bfe_u32 s3, ttmp6, 0x4000c
	s_wait_xcnt 0x0
	s_load_b32 s0, s[0:1], 0x28
	s_add_co_i32 s3, s3, 1
	s_wait_xcnt 0x0
	s_and_b32 s1, ttmp6, 15
	s_mul_i32 s3, ttmp9, s3
	s_getreg_b32 s7, hwreg(HW_REG_IB_STS2, 6, 4)
	s_add_co_i32 s1, s1, s3
	s_wait_kmcnt 0x0
	s_and_b32 s2, s2, 0xffff
	s_cmp_eq_u32 s7, 0
	s_cselect_b32 s1, ttmp9, s1
	s_cmp_eq_u32 s6, 1
	v_mad_u32 v0, s1, s2, v0
	s_cselect_b32 s1, -1, 0
	s_cmp_eq_u32 s10, 1
	s_mul_i32 s2, s0, s2
	s_cselect_b32 s3, -1, 0
	s_delay_alu instid0(SALU_CYCLE_1) | instskip(NEXT) | instid1(SALU_CYCLE_1)
	s_and_b32 s1, s1, s3
	s_and_b32 vcc_lo, exec_lo, s1
	s_mov_b32 s1, -1
	s_delay_alu instid0(VALU_DEP_1)
	v_cmp_gt_i32_e64 s0, s12, v0
	s_cbranch_vccnz .LBB5_6
; %bb.2:
	s_and_saveexec_b32 s1, s0
	s_cbranch_execz .LBB5_5
; %bb.3:
	v_ashrrev_i32_e32 v1, 31, v0
	s_ashr_i32 s7, s6, 31
	s_ashr_i32 s11, s10, 31
	;; [unrolled: 1-line block ×3, first 2 shown]
	s_delay_alu instid0(SALU_CYCLE_1)
	s_mul_u64 s[14:15], s[6:7], s[2:3]
	v_mul_u64_e32 v[2:3], s[10:11], v[0:1]
	v_mul_u64_e32 v[4:5], s[6:7], v[0:1]
	v_mov_b32_e32 v1, v0
	s_mul_u64 s[10:11], s[10:11], s[2:3]
	s_mov_b32 s3, 0
	s_lshl_b64 s[6:7], s[10:11], 2
	s_lshl_b64 s[10:11], s[14:15], 2
	s_delay_alu instid0(VALU_DEP_3) | instskip(NEXT) | instid1(VALU_DEP_3)
	v_lshl_add_u64 v[2:3], v[2:3], 2, s[8:9]
	v_lshl_add_u64 v[4:5], v[4:5], 2, s[4:5]
.LBB5_4:                                ; =>This Inner Loop Header: Depth=1
	global_load_b32 v6, v[4:5], off
	global_load_b32 v7, v[2:3], off
	v_add_nc_u32_e32 v1, s2, v1
	s_wait_loadcnt 0x1
	global_store_b32 v[2:3], v6, off
	s_wait_loadcnt 0x0
	global_store_b32 v[4:5], v7, off
	v_cmp_le_i32_e32 vcc_lo, s12, v1
	s_wait_xcnt 0x1
	v_add_nc_u64_e32 v[2:3], s[6:7], v[2:3]
	s_wait_xcnt 0x0
	v_add_nc_u64_e32 v[4:5], s[10:11], v[4:5]
	s_or_b32 s3, vcc_lo, s3
	s_delay_alu instid0(SALU_CYCLE_1)
	s_and_not1_b32 exec_lo, exec_lo, s3
	s_cbranch_execnz .LBB5_4
.LBB5_5:
	s_or_b32 exec_lo, exec_lo, s1
	s_mov_b32 s1, 0
.LBB5_6:
	s_delay_alu instid0(SALU_CYCLE_1)
	s_and_not1_b32 vcc_lo, exec_lo, s1
	s_cbranch_vccnz .LBB5_10
; %bb.7:
	s_and_saveexec_b32 s1, s0
	s_cbranch_execz .LBB5_10
; %bb.8:
	v_ashrrev_i32_e32 v1, 31, v0
	s_ashr_i32 s3, s2, 31
	s_delay_alu instid0(SALU_CYCLE_1) | instskip(SKIP_1) | instid1(VALU_DEP_1)
	s_lshl_b64 s[0:1], s[2:3], 2
	s_mov_b32 s3, 0
	v_lshlrev_b64_e32 v[2:3], 2, v[0:1]
.LBB5_9:                                ; =>This Inner Loop Header: Depth=1
	s_delay_alu instid0(VALU_DEP_1)
	v_add_nc_u64_e32 v[4:5], s[4:5], v[2:3]
	v_add_nc_u64_e32 v[6:7], s[8:9], v[2:3]
	v_add_nc_u32_e32 v0, s2, v0
	v_add_nc_u64_e32 v[2:3], s[0:1], v[2:3]
	global_load_b32 v1, v[4:5], off
	global_load_b32 v8, v[6:7], off
	v_cmp_le_i32_e32 vcc_lo, s12, v0
	s_wait_loadcnt 0x1
	global_store_b32 v[6:7], v1, off
	s_wait_loadcnt 0x0
	global_store_b32 v[4:5], v8, off
	s_or_b32 s3, vcc_lo, s3
	s_wait_xcnt 0x0
	s_and_not1_b32 exec_lo, exec_lo, s3
	s_cbranch_execnz .LBB5_9
.LBB5_10:
	s_endpgm
	.section	.rodata,"a",@progbits
	.p2align	6, 0x0
	.amdhsa_kernel _ZN9rocsolver6v33100L11swap_kernelIfiEEvT0_PT_S2_S4_S2_
		.amdhsa_group_segment_fixed_size 0
		.amdhsa_private_segment_fixed_size 0
		.amdhsa_kernarg_size 296
		.amdhsa_user_sgpr_count 2
		.amdhsa_user_sgpr_dispatch_ptr 0
		.amdhsa_user_sgpr_queue_ptr 0
		.amdhsa_user_sgpr_kernarg_segment_ptr 1
		.amdhsa_user_sgpr_dispatch_id 0
		.amdhsa_user_sgpr_kernarg_preload_length 0
		.amdhsa_user_sgpr_kernarg_preload_offset 0
		.amdhsa_user_sgpr_private_segment_size 0
		.amdhsa_wavefront_size32 1
		.amdhsa_uses_dynamic_stack 0
		.amdhsa_enable_private_segment 0
		.amdhsa_system_sgpr_workgroup_id_x 1
		.amdhsa_system_sgpr_workgroup_id_y 0
		.amdhsa_system_sgpr_workgroup_id_z 0
		.amdhsa_system_sgpr_workgroup_info 0
		.amdhsa_system_vgpr_workitem_id 0
		.amdhsa_next_free_vgpr 9
		.amdhsa_next_free_sgpr 16
		.amdhsa_named_barrier_count 0
		.amdhsa_reserve_vcc 1
		.amdhsa_float_round_mode_32 0
		.amdhsa_float_round_mode_16_64 0
		.amdhsa_float_denorm_mode_32 3
		.amdhsa_float_denorm_mode_16_64 3
		.amdhsa_fp16_overflow 0
		.amdhsa_memory_ordered 1
		.amdhsa_forward_progress 1
		.amdhsa_inst_pref_size 4
		.amdhsa_round_robin_scheduling 0
		.amdhsa_exception_fp_ieee_invalid_op 0
		.amdhsa_exception_fp_denorm_src 0
		.amdhsa_exception_fp_ieee_div_zero 0
		.amdhsa_exception_fp_ieee_overflow 0
		.amdhsa_exception_fp_ieee_underflow 0
		.amdhsa_exception_fp_ieee_inexact 0
		.amdhsa_exception_int_div_zero 0
	.end_amdhsa_kernel
	.section	.text._ZN9rocsolver6v33100L11swap_kernelIfiEEvT0_PT_S2_S4_S2_,"axG",@progbits,_ZN9rocsolver6v33100L11swap_kernelIfiEEvT0_PT_S2_S4_S2_,comdat
.Lfunc_end5:
	.size	_ZN9rocsolver6v33100L11swap_kernelIfiEEvT0_PT_S2_S4_S2_, .Lfunc_end5-_ZN9rocsolver6v33100L11swap_kernelIfiEEvT0_PT_S2_S4_S2_
                                        ; -- End function
	.set _ZN9rocsolver6v33100L11swap_kernelIfiEEvT0_PT_S2_S4_S2_.num_vgpr, 9
	.set _ZN9rocsolver6v33100L11swap_kernelIfiEEvT0_PT_S2_S4_S2_.num_agpr, 0
	.set _ZN9rocsolver6v33100L11swap_kernelIfiEEvT0_PT_S2_S4_S2_.numbered_sgpr, 16
	.set _ZN9rocsolver6v33100L11swap_kernelIfiEEvT0_PT_S2_S4_S2_.num_named_barrier, 0
	.set _ZN9rocsolver6v33100L11swap_kernelIfiEEvT0_PT_S2_S4_S2_.private_seg_size, 0
	.set _ZN9rocsolver6v33100L11swap_kernelIfiEEvT0_PT_S2_S4_S2_.uses_vcc, 1
	.set _ZN9rocsolver6v33100L11swap_kernelIfiEEvT0_PT_S2_S4_S2_.uses_flat_scratch, 0
	.set _ZN9rocsolver6v33100L11swap_kernelIfiEEvT0_PT_S2_S4_S2_.has_dyn_sized_stack, 0
	.set _ZN9rocsolver6v33100L11swap_kernelIfiEEvT0_PT_S2_S4_S2_.has_recursion, 0
	.set _ZN9rocsolver6v33100L11swap_kernelIfiEEvT0_PT_S2_S4_S2_.has_indirect_call, 0
	.section	.AMDGPU.csdata,"",@progbits
; Kernel info:
; codeLenInByte = 500
; TotalNumSgprs: 18
; NumVgprs: 9
; ScratchSize: 0
; MemoryBound: 0
; FloatMode: 240
; IeeeMode: 1
; LDSByteSize: 0 bytes/workgroup (compile time only)
; SGPRBlocks: 0
; VGPRBlocks: 0
; NumSGPRsForWavesPerEU: 18
; NumVGPRsForWavesPerEU: 9
; NamedBarCnt: 0
; Occupancy: 16
; WaveLimiterHint : 0
; COMPUTE_PGM_RSRC2:SCRATCH_EN: 0
; COMPUTE_PGM_RSRC2:USER_SGPR: 2
; COMPUTE_PGM_RSRC2:TRAP_HANDLER: 0
; COMPUTE_PGM_RSRC2:TGID_X_EN: 1
; COMPUTE_PGM_RSRC2:TGID_Y_EN: 0
; COMPUTE_PGM_RSRC2:TGID_Z_EN: 0
; COMPUTE_PGM_RSRC2:TIDIG_COMP_CNT: 0
	.text
	.p2align	2                               ; -- Begin function _ZN9rocsolver6v331009run_steqrIffEEviiiPT0_S3_PT_iPiS3_iS2_S2_S2_b
	.type	_ZN9rocsolver6v331009run_steqrIffEEviiiPT0_S3_PT_iPiS3_iS2_S2_S2_b,@function
_ZN9rocsolver6v331009run_steqrIffEEviiiPT0_S3_PT_iPiS3_iS2_S2_S2_b: ; @_ZN9rocsolver6v331009run_steqrIffEEviiiPT0_S3_PT_iPiS3_iS2_S2_S2_b
; %bb.0:
	s_wait_loadcnt_dscnt 0x0
	s_wait_kmcnt 0x0
	s_clause 0x1c
	scratch_store_b32 off, v40, s32 offset:112
	; meta instruction
	scratch_store_b32 off, v41, s32 offset:108
	; meta instruction
	;; [unrolled: 2-line block ×28, first 2 shown]
	scratch_store_b32 off, v93, s32
	v_dual_mov_b32 v20, v9 :: v_dual_mov_b32 v9, v8
	v_dual_mov_b32 v8, v7 :: v_dual_mov_b32 v23, v6
	;; [unrolled: 1-line block ×4, first 2 shown]
	v_and_b32_e32 v1, 1, v18
	v_cmp_eq_u32_e64 s0, 0, v0
	s_delay_alu instid0(VALU_DEP_2)
	v_cmp_eq_u32_e64 s1, 1, v1
	s_wait_xcnt 0x0
	s_and_saveexec_b32 s2, s0
; %bb.1:
	v_mov_b32_e32 v1, 0
	ds_store_2addr_b32 v1, v1, v1 offset0:3 offset1:7
; %bb.2:
	s_or_b32 exec_lo, exec_lo, s2
	v_mov_b32_e32 v25, 0
	s_wait_storecnt_dscnt 0x0
	s_barrier_signal -1
	s_barrier_wait -1
	ds_load_2addr_b32 v[18:19], v25 offset0:3 offset1:7
	s_wait_dscnt 0x0
	v_cmp_lt_i32_e32 vcc_lo, v18, v2
	v_cmp_lt_i32_e64 s2, v19, v14
	v_readfirstlane_b32 s6, v18
	v_add_nc_u32_e32 v18, -1, v2
	s_and_b32 s2, vcc_lo, s2
	s_delay_alu instid0(SALU_CYCLE_1)
	s_and_saveexec_b32 s10, s2
	s_cbranch_execz .LBB6_232
; %bb.3:
	v_dual_mul_f32 v72, v15, v15 :: v_dual_ashrrev_i32 v3, 31, v2
	v_dual_ashrrev_i32 v21, 31, v20 :: v_dual_ashrrev_i32 v7, 31, v6
	v_dual_ashrrev_i32 v1, 31, v0 :: v_dual_mov_b32 v67, 2.0
	s_delay_alu instid0(VALU_DEP_3) | instskip(NEXT) | instid1(VALU_DEP_3)
	v_lshlrev_b64_e32 v[48:49], 2, v[2:3]
	v_lshlrev_b64_e32 v[30:31], 2, v[20:21]
	v_add_nc_u64_e32 v[26:27], 4, v[4:5]
	v_add_nc_u64_e32 v[28:29], -4, v[12:13]
	v_add_nc_u64_e32 v[34:35], -4, v[4:5]
	;; [unrolled: 1-line block ×3, first 2 shown]
	v_lshlrev_b64_e32 v[38:39], 2, v[6:7]
	v_add_nc_u64_e32 v[32:33], -4, v[48:49]
	v_add_nc_u64_e32 v[48:49], v[12:13], v[48:49]
	v_sub_nc_u64_e32 v[50:51], 0, v[30:31]
	v_mov_b64_e32 v[54:55], 0xbf0000003f000000
	v_cmp_lt_i32_e64 s2, v0, v2
	v_lshl_add_u64 v[64:65], v[0:1], 2, v[8:9]
	s_mov_b32 s11, 0
	v_add_nc_u64_e32 v[52:53], v[12:13], v[32:33]
	s_mov_b32 s12, 0
                                        ; implicit-def: $vgpr86
                                        ; implicit-def: $vgpr82_vgpr83
                                        ; implicit-def: $vgpr96_vgpr97
                                        ; implicit-def: $vgpr68_vgpr69
                                        ; implicit-def: $vgpr7
                                        ; implicit-def: $vgpr84_vgpr85
                                        ; implicit-def: $vgpr1
                                        ; implicit-def: $vgpr70_vgpr71
                                        ; implicit-def: $vgpr80_vgpr81
	s_branch .LBB6_6
.LBB6_4:                                ;   in Loop: Header=BB6_6 Depth=1
	s_or_b32 exec_lo, exec_lo, s3
	s_wait_storecnt_dscnt 0x0
	s_barrier_signal -1
	s_barrier_wait -1
.LBB6_5:                                ;   in Loop: Header=BB6_6 Depth=1
	ds_load_2addr_b32 v[98:99], v25 offset0:3 offset1:7
	s_wait_dscnt 0x0
	v_cmp_ge_i32_e32 vcc_lo, v98, v2
	v_cmp_ge_i32_e64 s3, v99, v14
	v_readfirstlane_b32 s6, v98
	s_or_b32 s3, vcc_lo, s3
	s_delay_alu instid0(SALU_CYCLE_1) | instskip(NEXT) | instid1(SALU_CYCLE_1)
	s_and_b32 s3, exec_lo, s3
	s_or_b32 s12, s3, s12
	s_delay_alu instid0(SALU_CYCLE_1)
	s_and_not1_b32 exec_lo, exec_lo, s12
	s_cbranch_execz .LBB6_232
.LBB6_6:                                ; =>This Loop Header: Depth=1
                                        ;     Child Loop BB6_127 Depth 2
                                        ;     Child Loop BB6_20 Depth 2
	;; [unrolled: 1-line block ×6, first 2 shown]
                                        ;       Child Loop BB6_55 Depth 3
                                        ;       Child Loop BB6_75 Depth 3
	;; [unrolled: 1-line block ×3, first 2 shown]
                                        ;         Child Loop BB6_123 Depth 4
                                        ;     Child Loop BB6_140 Depth 2
                                        ;       Child Loop BB6_146 Depth 3
                                        ;       Child Loop BB6_166 Depth 3
	;; [unrolled: 1-line block ×3, first 2 shown]
                                        ;         Child Loop BB6_214 Depth 4
                                        ;     Child Loop BB6_225 Depth 2
                                        ;     Child Loop BB6_231 Depth 2
	s_and_saveexec_b32 s13, s0
	s_cbranch_execz .LBB6_28
; %bb.7:                                ;   in Loop: Header=BB6_6 Depth=1
	s_cmp_lt_i32 s6, 1
	s_cbranch_scc1 .LBB6_9
; %bb.8:                                ;   in Loop: Header=BB6_6 Depth=1
	s_mov_b32 s7, s11
	s_delay_alu instid0(SALU_CYCLE_1)
	v_lshl_add_u64 v[98:99], s[6:7], 2, v[22:23]
	flat_store_b32 v[98:99], v25 offset:-4
.LBB6_9:                                ;   in Loop: Header=BB6_6 Depth=1
	s_mov_b32 s3, 0
	s_mov_b32 s14, 0
	s_mov_b32 s4, exec_lo
	s_wait_xcnt 0x0
	v_cmpx_ge_i32_e64 s6, v18
	s_xor_b32 s4, exec_lo, s4
; %bb.10:                               ;   in Loop: Header=BB6_6 Depth=1
	s_mov_b32 s14, exec_lo
	s_ashr_i32 s7, s6, 31
; %bb.11:                               ;   in Loop: Header=BB6_6 Depth=1
	s_or_saveexec_b32 s15, s4
	v_mov_b64_e32 v[100:101], s[6:7]
	v_mov_b64_e32 v[98:99], s[6:7]
	v_mov_b32_e32 v19, s6
	s_xor_b32 exec_lo, exec_lo, s15
	s_cbranch_execnz .LBB6_125
; %bb.12:                               ;   in Loop: Header=BB6_6 Depth=1
	s_or_b32 exec_lo, exec_lo, s15
	s_and_saveexec_b32 s4, s14
	s_cbranch_execnz .LBB6_132
.LBB6_13:                               ;   in Loop: Header=BB6_6 Depth=1
	s_or_b32 exec_lo, exec_lo, s4
	s_and_saveexec_b32 s4, s3
	s_cbranch_execz .LBB6_15
.LBB6_14:                               ;   in Loop: Header=BB6_6 Depth=1
	v_mov_b64_e32 v[100:101], v[96:97]
	v_mov_b64_e32 v[98:99], v[86:87]
	v_mov_b32_e32 v19, v86
	ds_store_b32 v25, v86 offset:4
	flat_store_b32 v[82:83], v25
.LBB6_15:                               ;   in Loop: Header=BB6_6 Depth=1
	s_wait_xcnt 0x0
	s_or_b32 exec_lo, exec_lo, s4
	v_lshl_add_u64 v[98:99], v[98:99], 2, v[4:5]
	v_lshl_add_u64 v[100:101], v[100:101], 2, v[4:5]
	s_mov_b32 s3, exec_lo
	s_clause 0x1
	flat_load_b32 v24, v[98:99]
	flat_load_b32 v66, v[100:101]
	s_wait_xcnt 0x1
	v_dual_mov_b32 v98, s6 :: v_dual_add_nc_u32 v99, 1, v19
	s_wait_xcnt 0x0
	v_mov_b32_e32 v100, s6
	ds_store_2addr_b32 v25, v98, v19 offset1:5
	ds_store_b32 v25, v19 offset:32
	ds_store_2addr_b32 v25, v99, v100 offset0:3 offset1:4
	s_wait_loadcnt_dscnt 0x3
	v_cmpx_lt_f32_e64 |v24|, |v66|
; %bb.16:                               ;   in Loop: Header=BB6_6 Depth=1
	v_mov_b32_e32 v66, s6
	ds_store_2addr_b32 v25, v19, v66 offset1:5
; %bb.17:                               ;   in Loop: Header=BB6_6 Depth=1
	s_or_b32 exec_lo, exec_lo, s3
	v_and_b32_e32 v24, 0x7fffffff, v24
	s_mov_b32 s4, exec_lo
	v_cmpx_lt_i32_e64 s6, v19
	s_cbranch_execz .LBB6_27
; %bb.18:                               ;   in Loop: Header=BB6_6 Depth=1
	v_subrev_nc_u32_e32 v66, s6, v19
	v_mov_b32_e32 v98, s6
	s_mov_b32 s7, -1
	s_mov_b32 s5, exec_lo
	s_delay_alu instid0(VALU_DEP_2)
	v_cmpx_lt_u32_e32 1, v66
	s_cbranch_execz .LBB6_22
; %bb.19:                               ;   in Loop: Header=BB6_6 Depth=1
	v_dual_mov_b32 v102, v24 :: v_dual_bitop2_b32 v98, -2, v66 bitop3:0x40
	s_mov_b32 s8, 0
	s_mov_b32 s9, 0
                                        ; implicit-def: $sgpr7
	s_delay_alu instid0(VALU_DEP_1)
	v_add_nc_u32_e32 v99, -2, v98
.LBB6_20:                               ;   Parent Loop BB6_6 Depth=1
                                        ; =>  This Inner Loop Header: Depth=2
	s_add_co_i32 s14, s6, s9
	s_delay_alu instid0(VALU_DEP_1) | instskip(SKIP_1) | instid1(SALU_CYCLE_1)
	v_cmp_eq_u32_e32 vcc_lo, s9, v99
	s_ashr_i32 s15, s14, 31
	s_lshl_b64 s[14:15], s[14:15], 2
	s_delay_alu instid0(SALU_CYCLE_1)
	v_add_nc_u64_e32 v[100:101], s[14:15], v[22:23]
	v_add_nc_u64_e32 v[112:113], s[14:15], v[4:5]
	s_add_co_i32 s14, s9, 2
	flat_load_b64 v[114:115], v[100:101]
	flat_load_b64 v[112:113], v[112:113]
	s_wait_xcnt 0x1
	v_dual_mov_b32 v100, v24 :: v_dual_mov_b32 v101, v102
	s_wait_loadcnt_dscnt 0x101
	v_max_num_f32_e64 v24, |v115|, |v115|
	s_wait_loadcnt_dscnt 0x0
	v_max_num_f32_e64 v102, |v113|, |v113|
	v_max_num_f32_e64 v103, |v114|, |v114|
	s_wait_xcnt 0x0
	v_max_num_f32_e64 v112, |v112|, |v112|
	v_max_num_f32_e32 v114, v100, v100
	s_delay_alu instid0(VALU_DEP_2) | instskip(SKIP_1) | instid1(VALU_DEP_2)
	v_dual_max_num_f32 v24, v102, v24 :: v_dual_max_num_f32 v112, v112, v103
	v_mov_b32_e32 v103, s9
	v_cmp_u_f32_e64 s3, v24, v24
	s_delay_alu instid0(VALU_DEP_1) | instskip(NEXT) | instid1(VALU_DEP_4)
	v_cndmask_b32_e64 v102, 0, 1, s3
	v_cmp_u_f32_e64 s3, v112, v112
	s_delay_alu instid0(VALU_DEP_2) | instskip(NEXT) | instid1(VALU_DEP_2)
	v_lshlrev_b16 v102, 1, v102
	v_cndmask_b32_e64 v113, 0, 1, s3
	s_delay_alu instid0(VALU_DEP_1) | instskip(SKIP_1) | instid1(VALU_DEP_2)
	v_bitop3_b16 v102, v113, 3, v102 bitop3:0xc8
	v_max_num_f32_e32 v113, v101, v101
	v_cmp_ne_u16_e64 s3, 0, v102
	s_delay_alu instid0(VALU_DEP_2) | instskip(SKIP_2) | instid1(SALU_CYCLE_1)
	v_max_num_f32_e32 v102, v113, v24
	v_max_num_f32_e32 v24, v114, v112
	s_or_b32 s9, s3, vcc_lo
	s_and_b32 s9, exec_lo, s9
	s_delay_alu instid0(SALU_CYCLE_1)
	s_or_b32 s8, s9, s8
	s_and_not1_b32 s7, s7, exec_lo
	s_and_b32 s3, s3, exec_lo
	s_mov_b32 s9, s14
	s_or_b32 s7, s7, s3
	s_and_not1_b32 exec_lo, exec_lo, s8
	s_cbranch_execnz .LBB6_20
; %bb.21:                               ;   in Loop: Header=BB6_6 Depth=1
	s_or_b32 exec_lo, exec_lo, s8
	v_dual_cndmask_b32 v99, v102, v101, s7 :: v_dual_cndmask_b32 v24, v24, v100, s7
	v_cndmask_b32_e64 v100, v98, v103, s7
	v_cmp_ne_u32_e32 vcc_lo, v66, v98
	s_delay_alu instid0(VALU_DEP_3) | instskip(NEXT) | instid1(VALU_DEP_3)
	v_dual_max_num_f32 v99, v99, v99 :: v_dual_max_num_f32 v24, v24, v24
	v_add_nc_u32_e32 v98, s6, v100
	s_or_b32 s3, vcc_lo, s7
	s_delay_alu instid0(SALU_CYCLE_1) | instskip(NEXT) | instid1(VALU_DEP_2)
	s_or_not1_b32 s7, s3, exec_lo
	v_max_num_f32_e32 v24, v24, v99
.LBB6_22:                               ;   in Loop: Header=BB6_6 Depth=1
	s_or_b32 exec_lo, exec_lo, s5
	s_and_saveexec_b32 s3, s7
	s_cbranch_execz .LBB6_26
; %bb.23:                               ;   in Loop: Header=BB6_6 Depth=1
	v_ashrrev_i32_e32 v99, 31, v98
	s_mov_b32 s5, 0
	s_delay_alu instid0(VALU_DEP_1) | instskip(NEXT) | instid1(VALU_DEP_1)
	v_lshlrev_b64_e32 v[102:103], 2, v[98:99]
	v_add_nc_u64_e32 v[100:101], v[22:23], v[102:103]
	v_add_nc_u64_e32 v[102:103], v[4:5], v[102:103]
.LBB6_24:                               ;   Parent Loop BB6_6 Depth=1
                                        ; =>  This Inner Loop Header: Depth=2
	flat_load_b32 v66, v[102:103]
	flat_load_b32 v99, v[100:101]
	v_add_nc_u32_e32 v98, 1, v98
	s_wait_xcnt 0x0
	v_add_nc_u64_e32 v[100:101], 4, v[100:101]
	v_add_nc_u64_e32 v[102:103], 4, v[102:103]
	s_delay_alu instid0(VALU_DEP_3)
	v_cmp_ge_i32_e32 vcc_lo, v98, v19
	s_or_b32 s5, vcc_lo, s5
	s_wait_loadcnt_dscnt 0x0
	v_max3_num_f32 v24, v24, |v66|, |v99|
	s_and_not1_b32 exec_lo, exec_lo, s5
	s_cbranch_execnz .LBB6_24
; %bb.25:                               ;   in Loop: Header=BB6_6 Depth=1
	s_or_b32 exec_lo, exec_lo, s5
.LBB6_26:                               ;   in Loop: Header=BB6_6 Depth=1
	s_delay_alu instid0(SALU_CYCLE_1)
	s_or_b32 exec_lo, exec_lo, s3
.LBB6_27:                               ;   in Loop: Header=BB6_6 Depth=1
	s_delay_alu instid0(SALU_CYCLE_1)
	s_or_b32 exec_lo, exec_lo, s4
	ds_store_b32 v25, v24 offset:24
.LBB6_28:                               ;   in Loop: Header=BB6_6 Depth=1
	s_or_b32 exec_lo, exec_lo, s13
	s_wait_storecnt_dscnt 0x0
	s_barrier_signal -1
	s_barrier_wait -1
	ds_load_2addr_b32 v[98:99], v25 offset0:5 offset1:6
	ds_load_b32 v19, v25
	s_wait_dscnt 0x1
	v_cmp_eq_f32_e64 s3, 0, v99
	s_wait_dscnt 0x0
	v_cmp_eq_u32_e32 vcc_lo, v98, v19
	s_or_b32 s3, vcc_lo, s3
	s_delay_alu instid0(SALU_CYCLE_1)
	s_and_b32 vcc_lo, exec_lo, s3
	s_cbranch_vccnz .LBB6_5
; %bb.29:                               ;   in Loop: Header=BB6_6 Depth=1
	s_mov_b32 s3, exec_lo
	v_cmpx_ngt_f32_e32 v99, v17
	s_xor_b32 s3, exec_lo, s3
	s_cbranch_execz .LBB6_37
; %bb.30:                               ;   in Loop: Header=BB6_6 Depth=1
	s_mov_b32 s4, exec_lo
	v_cmpx_lt_f32_e32 v99, v16
	s_cbranch_execz .LBB6_36
; %bb.31:                               ;   in Loop: Header=BB6_6 Depth=1
	v_div_scale_f32 v19, null, v16, v16, v99
	ds_load_2addr_b32 v[100:101], v25 offset0:4 offset1:8
	v_rcp_f32_e32 v24, v19
	v_nop
	s_delay_alu instid0(TRANS32_DEP_1) | instskip(NEXT) | instid1(VALU_DEP_1)
	v_fma_f32 v66, -v19, v24, 1.0
	v_fmac_f32_e32 v24, v66, v24
	v_div_scale_f32 v66, vcc_lo, v99, v16, v99
	s_delay_alu instid0(VALU_DEP_1) | instskip(NEXT) | instid1(VALU_DEP_1)
	v_mul_f32_e32 v98, v66, v24
	v_fma_f32 v102, -v19, v98, v66
	s_delay_alu instid0(VALU_DEP_1) | instskip(NEXT) | instid1(VALU_DEP_1)
	v_fmac_f32_e32 v98, v102, v24
	v_fma_f32 v19, -v19, v98, v66
	s_delay_alu instid0(VALU_DEP_1) | instskip(NEXT) | instid1(VALU_DEP_1)
	v_div_fmas_f32 v19, v19, v24, v98
	v_div_fixup_f32 v19, v19, v16, v99
	s_and_saveexec_b32 s5, s0
	s_cbranch_execz .LBB6_33
; %bb.32:                               ;   in Loop: Header=BB6_6 Depth=1
	s_wait_dscnt 0x0
	v_dual_mov_b32 v98, v101 :: v_dual_ashrrev_i32 v99, 31, v101
	s_delay_alu instid0(VALU_DEP_1)
	v_lshl_add_u64 v[98:99], v[98:99], 2, v[4:5]
	flat_load_b32 v24, v[98:99]
	s_wait_loadcnt_dscnt 0x0
	v_mul_f32_e32 v24, v19, v24
	flat_store_b32 v[98:99], v24
.LBB6_33:                               ;   in Loop: Header=BB6_6 Depth=1
	s_wait_xcnt 0x0
	s_or_b32 exec_lo, exec_lo, s5
	s_wait_dscnt 0x0
	v_add_nc_u32_e32 v98, v100, v0
	s_delay_alu instid0(VALU_DEP_1)
	v_cmp_lt_i32_e32 vcc_lo, v98, v101
	s_and_b32 exec_lo, exec_lo, vcc_lo
	s_cbranch_execz .LBB6_36
; %bb.34:                               ;   in Loop: Header=BB6_6 Depth=1
	v_ashrrev_i32_e32 v99, 31, v98
	s_mov_b32 s5, 0
	s_delay_alu instid0(VALU_DEP_1)
	v_lshlrev_b64_e32 v[102:103], 2, v[98:99]
.LBB6_35:                               ;   Parent Loop BB6_6 Depth=1
                                        ; =>  This Inner Loop Header: Depth=2
	s_delay_alu instid0(VALU_DEP_1)
	v_add_nc_u64_e32 v[112:113], v[4:5], v[102:103]
	v_add_nc_u64_e32 v[114:115], v[22:23], v[102:103]
	;; [unrolled: 1-line block ×3, first 2 shown]
	v_add_nc_u32_e32 v98, v98, v6
	flat_load_b32 v24, v[112:113]
	v_cmp_ge_i32_e32 vcc_lo, v98, v101
	s_or_b32 s5, vcc_lo, s5
	s_wait_loadcnt_dscnt 0x0
	v_mul_f32_e32 v24, v19, v24
	flat_store_b32 v[112:113], v24
	flat_load_b32 v24, v[114:115]
	s_wait_loadcnt_dscnt 0x0
	v_mul_f32_e32 v24, v19, v24
	flat_store_b32 v[114:115], v24
	s_wait_xcnt 0x0
	s_and_not1_b32 exec_lo, exec_lo, s5
	s_cbranch_execnz .LBB6_35
.LBB6_36:                               ;   in Loop: Header=BB6_6 Depth=1
	s_or_b32 exec_lo, exec_lo, s4
                                        ; implicit-def: $vgpr98_vgpr99
.LBB6_37:                               ;   in Loop: Header=BB6_6 Depth=1
	s_and_not1_saveexec_b32 s3, s3
	s_cbranch_execz .LBB6_44
; %bb.38:                               ;   in Loop: Header=BB6_6 Depth=1
	v_div_scale_f32 v19, null, v17, v17, v99
	ds_load_2addr_b32 v[100:101], v25 offset0:4 offset1:8
	v_rcp_f32_e32 v24, v19
	v_nop
	s_delay_alu instid0(TRANS32_DEP_1) | instskip(NEXT) | instid1(VALU_DEP_1)
	v_fma_f32 v66, -v19, v24, 1.0
	v_fmac_f32_e32 v24, v66, v24
	v_div_scale_f32 v66, vcc_lo, v99, v17, v99
	s_delay_alu instid0(VALU_DEP_1) | instskip(NEXT) | instid1(VALU_DEP_1)
	v_mul_f32_e32 v98, v66, v24
	v_fma_f32 v102, -v19, v98, v66
	s_delay_alu instid0(VALU_DEP_1) | instskip(NEXT) | instid1(VALU_DEP_1)
	v_fmac_f32_e32 v98, v102, v24
	v_fma_f32 v19, -v19, v98, v66
	s_delay_alu instid0(VALU_DEP_1) | instskip(NEXT) | instid1(VALU_DEP_1)
	v_div_fmas_f32 v19, v19, v24, v98
	v_div_fixup_f32 v19, v19, v17, v99
	s_and_saveexec_b32 s4, s0
	s_cbranch_execz .LBB6_40
; %bb.39:                               ;   in Loop: Header=BB6_6 Depth=1
	s_wait_dscnt 0x0
	v_dual_mov_b32 v98, v101 :: v_dual_ashrrev_i32 v99, 31, v101
	s_delay_alu instid0(VALU_DEP_1)
	v_lshl_add_u64 v[98:99], v[98:99], 2, v[4:5]
	flat_load_b32 v24, v[98:99]
	s_wait_loadcnt_dscnt 0x0
	v_mul_f32_e32 v24, v19, v24
	flat_store_b32 v[98:99], v24
.LBB6_40:                               ;   in Loop: Header=BB6_6 Depth=1
	s_wait_xcnt 0x0
	s_or_b32 exec_lo, exec_lo, s4
	s_wait_dscnt 0x0
	v_add_nc_u32_e32 v98, v100, v0
	s_mov_b32 s4, exec_lo
	s_delay_alu instid0(VALU_DEP_1)
	v_cmpx_lt_i32_e64 v98, v101
	s_cbranch_execz .LBB6_43
; %bb.41:                               ;   in Loop: Header=BB6_6 Depth=1
	v_ashrrev_i32_e32 v99, 31, v98
	s_mov_b32 s5, 0
	s_delay_alu instid0(VALU_DEP_1)
	v_lshlrev_b64_e32 v[102:103], 2, v[98:99]
.LBB6_42:                               ;   Parent Loop BB6_6 Depth=1
                                        ; =>  This Inner Loop Header: Depth=2
	s_delay_alu instid0(VALU_DEP_1)
	v_add_nc_u64_e32 v[112:113], v[4:5], v[102:103]
	v_add_nc_u64_e32 v[114:115], v[22:23], v[102:103]
	;; [unrolled: 1-line block ×3, first 2 shown]
	v_add_nc_u32_e32 v98, v98, v6
	flat_load_b32 v24, v[112:113]
	v_cmp_ge_i32_e32 vcc_lo, v98, v101
	s_or_b32 s5, vcc_lo, s5
	s_wait_loadcnt_dscnt 0x0
	v_mul_f32_e32 v24, v19, v24
	flat_store_b32 v[112:113], v24
	flat_load_b32 v24, v[114:115]
	s_wait_loadcnt_dscnt 0x0
	v_mul_f32_e32 v24, v19, v24
	flat_store_b32 v[114:115], v24
	s_wait_xcnt 0x0
	s_and_not1_b32 exec_lo, exec_lo, s5
	s_cbranch_execnz .LBB6_42
.LBB6_43:                               ;   in Loop: Header=BB6_6 Depth=1
	s_or_b32 exec_lo, exec_lo, s4
.LBB6_44:                               ;   in Loop: Header=BB6_6 Depth=1
	s_delay_alu instid0(SALU_CYCLE_1)
	s_or_b32 exec_lo, exec_lo, s3
	s_wait_storecnt_dscnt 0x0
	s_barrier_signal -1
	s_barrier_wait -1
	ds_load_2addr_b32 v[98:99], v25 offset1:5
	ds_load_b32 v101, v25 offset:28
	s_mov_b32 s4, -1
                                        ; implicit-def: $vgpr112_vgpr113
                                        ; implicit-def: $vgpr102_vgpr103
                                        ; implicit-def: $vgpr19
	s_wait_dscnt 0x1
	v_cmp_lt_i32_e32 vcc_lo, v99, v98
	v_mov_b32_e32 v100, v99
	s_wait_dscnt 0x0
	v_cmp_lt_i32_e64 s3, v101, v14
	s_cbranch_vccnz .LBB6_135
; %bb.45:                               ;   in Loop: Header=BB6_6 Depth=1
	v_mov_b64_e32 v[112:113], v[80:81]
	v_mov_b64_e32 v[102:103], v[70:71]
	v_mov_b32_e32 v19, v1
	s_and_saveexec_b32 s6, s3
	s_cbranch_execz .LBB6_134
; %bb.46:                               ;   in Loop: Header=BB6_6 Depth=1
	v_mov_b64_e32 v[102:103], v[70:71]
	v_mov_b64_e32 v[112:113], v[80:81]
	v_dual_mov_b32 v19, v1 :: v_dual_mov_b32 v43, v101
	v_dual_mov_b32 v42, v100 :: v_dual_mov_b32 v114, v98
	s_mov_b32 s7, 0
	s_branch .LBB6_49
.LBB6_47:                               ;   in Loop: Header=BB6_49 Depth=2
	s_or_b32 exec_lo, exec_lo, s5
	s_wait_storecnt_dscnt 0x0
	s_barrier_signal -1
	s_barrier_wait -1
	ds_load_b32 v115, v25
.LBB6_48:                               ;   in Loop: Header=BB6_49 Depth=2
	ds_load_2addr_b32 v[42:43], v25 offset0:5 offset1:7
	s_wait_dscnt 0x1
	v_mov_b32_e32 v114, v115
	s_wait_dscnt 0x0
	v_cmp_gt_i32_e32 vcc_lo, v115, v42
	v_cmp_ge_i32_e64 s4, v43, v14
	s_or_b32 s4, vcc_lo, s4
	s_delay_alu instid0(SALU_CYCLE_1) | instskip(NEXT) | instid1(SALU_CYCLE_1)
	s_and_b32 s4, exec_lo, s4
	s_or_b32 s7, s4, s7
	s_delay_alu instid0(SALU_CYCLE_1)
	s_and_not1_b32 exec_lo, exec_lo, s7
	s_cbranch_execz .LBB6_133
.LBB6_49:                               ;   Parent Loop BB6_6 Depth=1
                                        ; =>  This Loop Header: Depth=2
                                        ;       Child Loop BB6_55 Depth 3
                                        ;       Child Loop BB6_75 Depth 3
	;; [unrolled: 1-line block ×3, first 2 shown]
                                        ;         Child Loop BB6_123 Depth 4
	s_and_saveexec_b32 s8, s0
	s_cbranch_execz .LBB6_118
; %bb.50:                               ;   in Loop: Header=BB6_49 Depth=2
	v_cmp_lt_i32_e32 vcc_lo, v114, v42
	s_mov_b32 s5, 0
	s_cbranch_vccnz .LBB6_52
; %bb.51:                               ;   in Loop: Header=BB6_49 Depth=2
	v_ashrrev_i32_e32 v115, 31, v114
	s_mov_b32 s4, -1
	s_delay_alu instid0(VALU_DEP_1)
	v_mov_b64_e32 v[40:41], v[114:115]
	v_mov_b32_e32 v118, v114
	s_cbranch_execz .LBB6_53
	s_branch .LBB6_58
.LBB6_52:                               ;   in Loop: Header=BB6_49 Depth=2
	s_mov_b32 s4, 0
                                        ; implicit-def: $vgpr40_vgpr41
	v_mov_b32_e32 v118, v114
.LBB6_53:                               ;   in Loop: Header=BB6_49 Depth=2
	v_dual_mov_b32 v24, v114 :: v_dual_ashrrev_i32 v115, 31, v114
                                        ; implicit-def: $sgpr4
                                        ; implicit-def: $sgpr13
                                        ; implicit-def: $sgpr9
	s_delay_alu instid0(VALU_DEP_1) | instskip(NEXT) | instid1(VALU_DEP_1)
	v_lshlrev_b64_e32 v[102:103], 2, v[114:115]
	v_add_nc_u64_e32 v[112:113], v[4:5], v[102:103]
	v_add_nc_u64_e32 v[116:117], v[22:23], v[102:103]
	s_branch .LBB6_55
.LBB6_54:                               ;   in Loop: Header=BB6_55 Depth=3
	s_or_b32 exec_lo, exec_lo, s14
	s_xor_b32 s14, s9, -1
	s_and_b32 s15, exec_lo, s13
	s_delay_alu instid0(SALU_CYCLE_1) | instskip(SKIP_2) | instid1(SALU_CYCLE_1)
	s_or_b32 s5, s15, s5
	s_and_not1_b32 s4, s4, exec_lo
	s_and_b32 s14, s14, exec_lo
	s_or_b32 s4, s4, s14
	s_and_not1_b32 exec_lo, exec_lo, s5
	s_cbranch_execz .LBB6_57
.LBB6_55:                               ;   Parent Loop BB6_6 Depth=1
                                        ;     Parent Loop BB6_49 Depth=2
                                        ; =>    This Inner Loop Header: Depth=3
	s_delay_alu instid0(VALU_DEP_1)
	v_mov_b64_e32 v[102:103], v[116:117]
	s_or_b32 s9, s9, exec_lo
	s_or_b32 s13, s13, exec_lo
	s_mov_b32 s14, exec_lo
	flat_load_b64 v[116:117], v[112:113]
	flat_load_b32 v19, v[102:103]
	s_wait_loadcnt_dscnt 0x0
	v_dual_mul_f32 v66, v116, v117 :: v_dual_mul_f32 v99, v19, v19
	v_mov_b32_e32 v19, v24
                                        ; implicit-def: $vgpr24
                                        ; implicit-def: $vgpr116_vgpr117
	s_delay_alu instid0(VALU_DEP_2) | instskip(NEXT) | instid1(VALU_DEP_1)
	v_mul_f32_e64 v66, v72, |v66|
	v_cmpx_nle_f32_e64 |v99|, v66
	s_cbranch_execz .LBB6_54
; %bb.56:                               ;   in Loop: Header=BB6_55 Depth=3
	s_delay_alu instid0(VALU_DEP_3)
	v_add_nc_u32_e32 v24, 1, v19
	v_add_nc_u64_e32 v[112:113], 4, v[112:113]
	v_add_nc_u64_e32 v[116:117], 4, v[102:103]
	s_and_not1_b32 s13, s13, exec_lo
	s_and_not1_b32 s9, s9, exec_lo
	v_cmp_ge_i32_e32 vcc_lo, v24, v42
	s_and_b32 s15, vcc_lo, exec_lo
	s_delay_alu instid0(SALU_CYCLE_1)
	s_or_b32 s13, s13, s15
	s_branch .LBB6_54
.LBB6_57:                               ;   in Loop: Header=BB6_49 Depth=2
	s_or_b32 exec_lo, exec_lo, s5
	v_mov_b64_e32 v[112:113], v[114:115]
	v_mov_b64_e32 v[40:41], v[114:115]
	v_mov_b32_e32 v118, v42
	s_mov_b32 s5, -1
.LBB6_58:                               ;   in Loop: Header=BB6_49 Depth=2
	s_and_saveexec_b32 s9, s4
	s_cbranch_execnz .LBB6_87
; %bb.59:                               ;   in Loop: Header=BB6_49 Depth=2
	s_or_b32 exec_lo, exec_lo, s9
	s_and_saveexec_b32 s4, s5
	s_cbranch_execz .LBB6_61
.LBB6_60:                               ;   in Loop: Header=BB6_49 Depth=2
	v_mov_b64_e32 v[40:41], v[112:113]
	v_mov_b32_e32 v118, v19
	ds_store_2addr_b32 v25, v19, v114 offset0:1 offset1:4
	flat_store_b32 v[102:103], v25
.LBB6_61:                               ;   in Loop: Header=BB6_49 Depth=2
	s_wait_xcnt 0x0
	s_or_b32 exec_lo, exec_lo, s4
	v_lshl_add_u64 v[116:117], v[40:41], 2, v[4:5]
	s_mov_b32 s4, exec_lo
	flat_load_b32 v115, v[116:117]
	s_wait_loadcnt_dscnt 0x0
	ds_store_b32 v25, v115 offset:8
	s_wait_xcnt 0x0
	v_cmpx_ne_u32_e64 v118, v114
	s_xor_b32 s9, exec_lo, s4
	s_cbranch_execz .LBB6_115
; %bb.62:                               ;   in Loop: Header=BB6_49 Depth=2
	v_add_nc_u32_e32 v24, 1, v114
	s_mov_b32 s4, exec_lo
	s_delay_alu instid0(VALU_DEP_1)
	v_cmpx_ne_u32_e64 v118, v24
	s_xor_b32 s5, exec_lo, s4
	s_cbranch_execz .LBB6_91
; %bb.63:                               ;   in Loop: Header=BB6_49 Depth=2
	v_lshl_add_u64 v[40:41], v[40:41], 2, v[22:23]
	s_mov_b32 s13, exec_lo
	flat_load_b32 v24, v[116:117] offset:4
	flat_load_b32 v66, v[40:41]
	s_wait_loadcnt_dscnt 0x101
	v_dual_sub_f32 v24, v24, v115 :: v_dual_ashrrev_i32 v119, 31, v118
	s_delay_alu instid0(VALU_DEP_1) | instskip(SKIP_4) | instid1(VALU_DEP_1)
	v_lshl_add_u64 v[46:47], v[118:119], 2, v[4:5]
	s_wait_loadcnt_dscnt 0x0
	v_add_f32_e32 v42, v66, v66
	flat_load_b32 v99, v[46:47]
	v_div_scale_f32 v44, null, v42, v42, v24
	v_rcp_f32_e32 v45, v44
	v_nop
	s_delay_alu instid0(TRANS32_DEP_1) | instskip(NEXT) | instid1(VALU_DEP_1)
	v_fma_f32 v56, -v44, v45, 1.0
	v_fmac_f32_e32 v45, v56, v45
	v_div_scale_f32 v57, vcc_lo, v24, v42, v24
	s_delay_alu instid0(VALU_DEP_1) | instskip(NEXT) | instid1(VALU_DEP_1)
	v_mul_f32_e32 v56, v57, v45
	v_fma_f32 v58, -v44, v56, v57
	s_delay_alu instid0(VALU_DEP_1) | instskip(NEXT) | instid1(VALU_DEP_1)
	v_fmac_f32_e32 v56, v58, v45
	v_fma_f32 v44, -v44, v56, v57
	s_delay_alu instid0(VALU_DEP_1) | instskip(NEXT) | instid1(VALU_DEP_1)
	v_div_fmas_f32 v44, v44, v45, v56
	v_div_fixup_f32 v24, v44, v42, v24
	s_delay_alu instid0(VALU_DEP_1) | instskip(NEXT) | instid1(VALU_DEP_1)
	v_fma_f32 v42, v24, v24, 1.0
	v_mul_f32_e32 v44, 0x4f800000, v42
	v_cmp_gt_f32_e32 vcc_lo, 0xf800000, v42
	s_wait_loadcnt_dscnt 0x0
	s_delay_alu instid0(VALU_DEP_2) | instskip(SKIP_1) | instid1(VALU_DEP_2)
	v_dual_sub_f32 v99, v99, v115 :: v_dual_cndmask_b32 v42, v42, v44
	v_add_nc_u32_e32 v115, 1, v43
	v_sqrt_f32_e32 v44, v42
	ds_store_2addr_b32 v25, v25, v115 offset0:2 offset1:7
	v_nop
	v_dual_add_nc_u32 v45, -1, v44 :: v_dual_add_nc_u32 v56, 1, v44
	s_delay_alu instid0(VALU_DEP_1) | instskip(NEXT) | instid1(VALU_DEP_1)
	v_dual_fma_f32 v57, -v45, v44, v42 :: v_dual_fma_f32 v58, -v56, v44, v42
	v_cmp_ge_f32_e64 s4, 0, v57
	s_delay_alu instid0(VALU_DEP_1) | instskip(NEXT) | instid1(VALU_DEP_3)
	v_cndmask_b32_e64 v44, v44, v45, s4
	v_cmp_lt_f32_e64 s4, 0, v58
	s_delay_alu instid0(VALU_DEP_1) | instskip(NEXT) | instid1(VALU_DEP_1)
	v_cndmask_b32_e64 v44, v44, v56, s4
	v_mul_f32_e32 v45, 0x37800000, v44
	s_delay_alu instid0(VALU_DEP_1) | instskip(SKIP_1) | instid1(VALU_DEP_2)
	v_cndmask_b32_e32 v44, v44, v45, vcc_lo
	v_cmp_class_f32_e64 vcc_lo, v42, 0x260
	v_cndmask_b32_e32 v42, v44, v42, vcc_lo
	v_cmp_nle_f32_e32 vcc_lo, 0, v24
	s_delay_alu instid0(VALU_DEP_2) | instskip(NEXT) | instid1(VALU_DEP_1)
	v_cndmask_b32_e64 v42, |v42|, -|v42|, vcc_lo
	v_add_f32_e32 v24, v24, v42
	s_delay_alu instid0(VALU_DEP_1) | instskip(SKIP_1) | instid1(VALU_DEP_2)
	v_div_scale_f32 v42, null, v24, v24, v66
	v_div_scale_f32 v56, vcc_lo, v66, v24, v66
	v_rcp_f32_e32 v44, v42
	v_nop
	s_delay_alu instid0(TRANS32_DEP_1) | instskip(NEXT) | instid1(VALU_DEP_1)
	v_fma_f32 v45, -v42, v44, 1.0
	v_fmac_f32_e32 v44, v45, v44
	s_delay_alu instid0(VALU_DEP_1) | instskip(NEXT) | instid1(VALU_DEP_1)
	v_mul_f32_e32 v45, v56, v44
	v_fma_f32 v57, -v42, v45, v56
	s_delay_alu instid0(VALU_DEP_1) | instskip(NEXT) | instid1(VALU_DEP_1)
	v_fmac_f32_e32 v45, v57, v44
	v_fma_f32 v42, -v42, v45, v56
	s_delay_alu instid0(VALU_DEP_1) | instskip(NEXT) | instid1(VALU_DEP_1)
	v_div_fmas_f32 v42, v42, v44, v45
	v_div_fixup_f32 v66, v42, v24, v66
	s_delay_alu instid0(VALU_DEP_1)
	v_dual_mov_b32 v24, 0 :: v_dual_add_f32 v45, v99, v66
	s_wait_xcnt 0x0
	v_cmpx_gt_i32_e64 v118, v114
	s_cbranch_execz .LBB6_90
; %bb.64:                               ;   in Loop: Header=BB6_49 Depth=2
	v_lshl_add_u64 v[42:43], v[118:119], 2, v[22:23]
	s_mov_b32 s14, exec_lo
	flat_load_b32 v24, v[42:43] offset:-4
	s_wait_xcnt 0x0
	v_dual_mov_b32 v42, 0 :: v_dual_mov_b32 v43, 1.0
	s_wait_loadcnt_dscnt 0x0
	v_cmpx_neq_f32_e32 0, v24
	s_cbranch_execz .LBB6_72
; %bb.65:                               ;   in Loop: Header=BB6_49 Depth=2
	v_dual_mov_b32 v43, 0 :: v_dual_mov_b32 v42, 1.0
	s_mov_b32 s15, exec_lo
	v_cmpx_neq_f32_e32 0, v45
	s_cbranch_execz .LBB6_71
; %bb.66:                               ;   in Loop: Header=BB6_49 Depth=2
	s_mov_b32 s16, exec_lo
                                        ; implicit-def: $vgpr43
	v_cmpx_ngt_f32_e64 |v24|, |v45|
	s_xor_b32 s16, exec_lo, s16
	s_cbranch_execz .LBB6_68
; %bb.67:                               ;   in Loop: Header=BB6_49 Depth=2
	v_div_scale_f32 v66, null, v45, v45, -v24
	v_div_scale_f32 v42, vcc_lo, -v24, v45, -v24
	s_delay_alu instid0(VALU_DEP_2) | instskip(SKIP_1) | instid1(TRANS32_DEP_1)
	v_rcp_f32_e32 v99, v66
	v_nop
	v_fma_f32 v115, -v66, v99, 1.0
	s_delay_alu instid0(VALU_DEP_1) | instskip(NEXT) | instid1(VALU_DEP_1)
	v_fmac_f32_e32 v99, v115, v99
	v_mul_f32_e32 v115, v42, v99
	s_delay_alu instid0(VALU_DEP_1) | instskip(NEXT) | instid1(VALU_DEP_1)
	v_fma_f32 v43, -v66, v115, v42
	v_fmac_f32_e32 v115, v43, v99
	s_delay_alu instid0(VALU_DEP_1) | instskip(NEXT) | instid1(VALU_DEP_1)
	v_fma_f32 v66, -v66, v115, v42
	v_div_fmas_f32 v66, v66, v99, v115
	s_delay_alu instid0(VALU_DEP_1) | instskip(NEXT) | instid1(VALU_DEP_1)
	v_div_fixup_f32 v66, v66, v45, -v24
	v_fma_f32 v99, v66, v66, 1.0
	s_delay_alu instid0(VALU_DEP_1) | instskip(SKIP_1) | instid1(VALU_DEP_2)
	v_mul_f32_e32 v115, 0x4f800000, v99
	v_cmp_gt_f32_e32 vcc_lo, 0xf800000, v99
	v_cndmask_b32_e32 v99, v99, v115, vcc_lo
	s_delay_alu instid0(VALU_DEP_1) | instskip(SKIP_1) | instid1(TRANS32_DEP_1)
	v_sqrt_f32_e32 v115, v99
	v_nop
	v_dual_add_nc_u32 v42, -1, v115 :: v_dual_add_nc_u32 v43, 1, v115
	s_delay_alu instid0(VALU_DEP_1) | instskip(NEXT) | instid1(VALU_DEP_1)
	v_dual_fma_f32 v44, -v42, v115, v99 :: v_dual_fma_f32 v45, -v43, v115, v99
	v_cmp_ge_f32_e64 s4, 0, v44
	s_delay_alu instid0(VALU_DEP_1) | instskip(NEXT) | instid1(VALU_DEP_3)
	v_cndmask_b32_e64 v115, v115, v42, s4
	v_cmp_lt_f32_e64 s4, 0, v45
	s_delay_alu instid0(VALU_DEP_1) | instskip(NEXT) | instid1(VALU_DEP_1)
	v_cndmask_b32_e64 v115, v115, v43, s4
	v_mul_f32_e32 v42, 0x37800000, v115
	s_delay_alu instid0(VALU_DEP_1) | instskip(SKIP_1) | instid1(VALU_DEP_2)
	v_cndmask_b32_e32 v115, v115, v42, vcc_lo
	v_cmp_class_f32_e64 vcc_lo, v99, 0x260
	v_cndmask_b32_e32 v99, v115, v99, vcc_lo
	s_delay_alu instid0(VALU_DEP_1) | instskip(NEXT) | instid1(VALU_DEP_1)
	v_div_scale_f32 v115, null, v99, v99, 1.0
	v_rcp_f32_e32 v42, v115
	v_nop
	s_delay_alu instid0(TRANS32_DEP_1) | instskip(NEXT) | instid1(VALU_DEP_1)
	v_fma_f32 v43, -v115, v42, 1.0
	v_fmac_f32_e32 v42, v43, v42
	v_div_scale_f32 v43, vcc_lo, 1.0, v99, 1.0
	s_delay_alu instid0(VALU_DEP_1) | instskip(NEXT) | instid1(VALU_DEP_1)
	v_mul_f32_e32 v44, v43, v42
	v_fma_f32 v45, -v115, v44, v43
	s_delay_alu instid0(VALU_DEP_1) | instskip(NEXT) | instid1(VALU_DEP_1)
	v_fmac_f32_e32 v44, v45, v42
                                        ; implicit-def: $vgpr45
	v_fma_f32 v115, -v115, v44, v43
	s_delay_alu instid0(VALU_DEP_1) | instskip(NEXT) | instid1(VALU_DEP_1)
	v_div_fmas_f32 v115, v115, v42, v44
	v_div_fixup_f32 v43, v115, v99, 1.0
	s_delay_alu instid0(VALU_DEP_1)
	v_mul_f32_e32 v42, v66, v43
.LBB6_68:                               ;   in Loop: Header=BB6_49 Depth=2
	s_and_not1_saveexec_b32 s16, s16
	s_cbranch_execz .LBB6_70
; %bb.69:                               ;   in Loop: Header=BB6_49 Depth=2
	v_div_scale_f32 v66, null, v24, v24, -v45
	v_div_scale_f32 v42, vcc_lo, -v45, v24, -v45
	s_delay_alu instid0(VALU_DEP_2) | instskip(SKIP_1) | instid1(TRANS32_DEP_1)
	v_rcp_f32_e32 v99, v66
	v_nop
	v_fma_f32 v115, -v66, v99, 1.0
	s_delay_alu instid0(VALU_DEP_1) | instskip(NEXT) | instid1(VALU_DEP_1)
	v_fmac_f32_e32 v99, v115, v99
	v_mul_f32_e32 v115, v42, v99
	s_delay_alu instid0(VALU_DEP_1) | instskip(NEXT) | instid1(VALU_DEP_1)
	v_fma_f32 v43, -v66, v115, v42
	v_fmac_f32_e32 v115, v43, v99
	s_delay_alu instid0(VALU_DEP_1) | instskip(NEXT) | instid1(VALU_DEP_1)
	v_fma_f32 v66, -v66, v115, v42
	v_div_fmas_f32 v66, v66, v99, v115
	s_delay_alu instid0(VALU_DEP_1) | instskip(NEXT) | instid1(VALU_DEP_1)
	v_div_fixup_f32 v66, v66, v24, -v45
	v_fma_f32 v99, v66, v66, 1.0
	s_delay_alu instid0(VALU_DEP_1) | instskip(SKIP_1) | instid1(VALU_DEP_2)
	v_mul_f32_e32 v115, 0x4f800000, v99
	v_cmp_gt_f32_e32 vcc_lo, 0xf800000, v99
	v_cndmask_b32_e32 v99, v99, v115, vcc_lo
	s_delay_alu instid0(VALU_DEP_1) | instskip(SKIP_1) | instid1(TRANS32_DEP_1)
	v_sqrt_f32_e32 v115, v99
	v_nop
	v_dual_add_nc_u32 v42, -1, v115 :: v_dual_add_nc_u32 v43, 1, v115
	s_delay_alu instid0(VALU_DEP_1) | instskip(NEXT) | instid1(VALU_DEP_1)
	v_dual_fma_f32 v44, -v42, v115, v99 :: v_dual_fma_f32 v45, -v43, v115, v99
	v_cmp_ge_f32_e64 s4, 0, v44
	s_delay_alu instid0(VALU_DEP_1) | instskip(NEXT) | instid1(VALU_DEP_3)
	v_cndmask_b32_e64 v115, v115, v42, s4
	v_cmp_lt_f32_e64 s4, 0, v45
	s_delay_alu instid0(VALU_DEP_1) | instskip(NEXT) | instid1(VALU_DEP_1)
	v_cndmask_b32_e64 v115, v115, v43, s4
	v_mul_f32_e32 v42, 0x37800000, v115
	s_delay_alu instid0(VALU_DEP_1) | instskip(SKIP_1) | instid1(VALU_DEP_2)
	v_cndmask_b32_e32 v115, v115, v42, vcc_lo
	v_cmp_class_f32_e64 vcc_lo, v99, 0x260
	v_cndmask_b32_e32 v99, v115, v99, vcc_lo
	s_delay_alu instid0(VALU_DEP_1) | instskip(NEXT) | instid1(VALU_DEP_1)
	v_div_scale_f32 v115, null, v99, v99, 1.0
	v_rcp_f32_e32 v42, v115
	v_nop
	s_delay_alu instid0(TRANS32_DEP_1) | instskip(NEXT) | instid1(VALU_DEP_1)
	v_fma_f32 v43, -v115, v42, 1.0
	v_fmac_f32_e32 v42, v43, v42
	v_div_scale_f32 v43, vcc_lo, 1.0, v99, 1.0
	s_delay_alu instid0(VALU_DEP_1) | instskip(NEXT) | instid1(VALU_DEP_1)
	v_mul_f32_e32 v44, v43, v42
	v_fma_f32 v45, -v115, v44, v43
	s_delay_alu instid0(VALU_DEP_1) | instskip(NEXT) | instid1(VALU_DEP_1)
	v_fmac_f32_e32 v44, v45, v42
	v_fma_f32 v115, -v115, v44, v43
	s_delay_alu instid0(VALU_DEP_1) | instskip(NEXT) | instid1(VALU_DEP_1)
	v_div_fmas_f32 v115, v115, v42, v44
	v_div_fixup_f32 v42, v115, v99, 1.0
	s_delay_alu instid0(VALU_DEP_1)
	v_mul_f32_e32 v43, v66, v42
.LBB6_70:                               ;   in Loop: Header=BB6_49 Depth=2
	s_or_b32 exec_lo, exec_lo, s16
.LBB6_71:                               ;   in Loop: Header=BB6_49 Depth=2
	s_delay_alu instid0(SALU_CYCLE_1)
	s_or_b32 exec_lo, exec_lo, s15
.LBB6_72:                               ;   in Loop: Header=BB6_49 Depth=2
	s_delay_alu instid0(SALU_CYCLE_1) | instskip(SKIP_3) | instid1(VALU_DEP_1)
	s_or_b32 exec_lo, exec_lo, s14
	flat_load_b64 v[44:45], v[46:47] offset:-4
	s_mov_b32 s14, exec_lo
	v_add_nc_u32_e32 v56, -1, v118
	v_ashrrev_i32_e32 v57, 31, v56
	s_delay_alu instid0(VALU_DEP_1) | instskip(SKIP_2) | instid1(VALU_DEP_1)
	v_lshl_add_u64 v[60:61], v[56:57], 2, v[48:49]
	s_wait_loadcnt_dscnt 0x0
	v_sub_f32_e32 v66, v44, v45
	v_pk_mul_f32 v[58:59], v[42:43], v[66:67]
	s_delay_alu instid0(VALU_DEP_1) | instskip(SKIP_1) | instid1(VALU_DEP_2)
	v_fma_f32 v66, v24, v59, -v58
	v_lshl_add_u64 v[58:59], v[118:119], 2, v[12:13]
	v_dual_mul_f32 v99, v66, -v42 :: v_dual_fma_f32 v115, v66, -v42, v45
	v_fma_f32 v45, v43, v66, -v24
	ds_store_b32 v25, v99 offset:8
	flat_store_b32 v[46:47], v115
	s_clause 0x1
	flat_store_b32 v[58:59], v43 offset:-4
	flat_store_b32 v[60:61], v42 offset:-4
	s_wait_xcnt 0x0
	v_cmpx_gt_i32_e64 v56, v114
	s_cbranch_execz .LBB6_89
; %bb.73:                               ;   in Loop: Header=BB6_49 Depth=2
	v_add_nc_u32_e32 v60, -2, v118
	v_lshlrev_b64_e32 v[58:59], 2, v[56:57]
	v_xor_b32_e32 v66, 0x80000000, v42
	s_mov_b32 s16, -1
	s_mov_b32 s15, 0
	v_ashrrev_i32_e32 v61, 31, v60
	s_delay_alu instid0(VALU_DEP_3) | instskip(SKIP_2) | instid1(VALU_DEP_4)
	v_add_nc_u64_e32 v[46:47], v[28:29], v[58:59]
	v_add_nc_u64_e32 v[56:57], v[34:35], v[58:59]
	;; [unrolled: 1-line block ×3, first 2 shown]
	v_lshl_add_u64 v[60:61], v[60:61], 2, v[52:53]
	s_branch .LBB6_75
.LBB6_74:                               ;   in Loop: Header=BB6_75 Depth=3
	flat_load_b64 v[44:45], v[56:57]
	ds_load_b32 v66, v25 offset:8
	s_add_co_i32 s16, s16, -1
	v_add_nc_u64_e32 v[58:59], -4, v[58:59]
	v_dual_mul_f32 v24, v43, v24 :: v_dual_add_nc_u32 v119, s16, v118
	s_delay_alu instid0(VALU_DEP_1) | instskip(SKIP_3) | instid1(VALU_DEP_1)
	v_cmp_le_i32_e32 vcc_lo, v119, v114
	s_or_b32 s15, vcc_lo, s15
	s_wait_loadcnt_dscnt 0x0
	v_sub_f32_e32 v99, v45, v66
	v_sub_f32_e32 v66, v44, v99
	s_delay_alu instid0(VALU_DEP_1) | instskip(SKIP_1) | instid1(VALU_DEP_2)
	v_pk_mul_f32 v[42:43], v[62:63], v[66:67]
	v_xor_b32_e32 v66, 0x80000000, v62
	v_dual_fma_f32 v115, v24, v43, -v42 :: v_dual_mov_b32 v43, v63
	s_delay_alu instid0(VALU_DEP_1)
	v_dual_mul_f32 v42, v115, -v62 :: v_dual_fma_f32 v99, v115, -v62, v99
	v_fma_f32 v45, v63, v115, -v24
	ds_store_b32 v25, v42 offset:8
	flat_store_b32 v[56:57], v99 offset:4
	flat_store_b32 v[46:47], v63
	flat_store_b32 v[60:61], v62
	s_wait_xcnt 0x1
	v_add_nc_u64_e32 v[46:47], -4, v[46:47]
	v_add_nc_u64_e32 v[56:57], -4, v[56:57]
	s_wait_xcnt 0x0
	v_add_nc_u64_e32 v[60:61], -4, v[60:61]
	s_and_not1_b32 exec_lo, exec_lo, s15
	s_cbranch_execz .LBB6_88
.LBB6_75:                               ;   Parent Loop BB6_6 Depth=1
                                        ;     Parent Loop BB6_49 Depth=2
                                        ; =>    This Inner Loop Header: Depth=3
	flat_load_b32 v24, v[58:59]
	v_mov_b32_e32 v63, 1.0
	s_mov_b32 s17, exec_lo
	s_wait_loadcnt_dscnt 0x0
	v_dual_mov_b32 v62, 0 :: v_dual_mul_f32 v44, v66, v24
	s_wait_xcnt 0x0
	s_delay_alu instid0(VALU_DEP_1)
	v_cmpx_neq_f32_e32 0, v44
	s_cbranch_execz .LBB6_85
; %bb.76:                               ;   in Loop: Header=BB6_75 Depth=3
	v_xor_b32_e32 v66, 0x80000000, v44
                                        ; implicit-def: $vgpr63
	s_mov_b32 s4, exec_lo
	v_cmpx_neq_f32_e32 0, v45
	s_xor_b32 s18, exec_lo, s4
	s_cbranch_execz .LBB6_82
; %bb.77:                               ;   in Loop: Header=BB6_75 Depth=3
	s_mov_b32 s19, exec_lo
                                        ; implicit-def: $vgpr63
	v_cmpx_ngt_f32_e64 |v44|, |v45|
	s_xor_b32 s19, exec_lo, s19
	s_cbranch_execz .LBB6_79
; %bb.78:                               ;   in Loop: Header=BB6_75 Depth=3
	v_div_scale_f32 v66, null, v45, v45, -v44
	v_div_scale_f32 v119, vcc_lo, -v44, v45, -v44
	s_delay_alu instid0(VALU_DEP_2) | instskip(SKIP_1) | instid1(TRANS32_DEP_1)
	v_rcp_f32_e32 v99, v66
	v_nop
	v_fma_f32 v115, -v66, v99, 1.0
	s_delay_alu instid0(VALU_DEP_1) | instskip(NEXT) | instid1(VALU_DEP_1)
	v_fmac_f32_e32 v99, v115, v99
	v_mul_f32_e32 v115, v119, v99
	s_delay_alu instid0(VALU_DEP_1) | instskip(NEXT) | instid1(VALU_DEP_1)
	v_fma_f32 v42, -v66, v115, v119
	v_fmac_f32_e32 v115, v42, v99
	s_delay_alu instid0(VALU_DEP_1) | instskip(NEXT) | instid1(VALU_DEP_1)
	v_fma_f32 v66, -v66, v115, v119
	v_div_fmas_f32 v66, v66, v99, v115
	s_delay_alu instid0(VALU_DEP_1) | instskip(NEXT) | instid1(VALU_DEP_1)
	v_div_fixup_f32 v66, v66, v45, -v44
	v_fma_f32 v99, v66, v66, 1.0
	s_delay_alu instid0(VALU_DEP_1) | instskip(SKIP_1) | instid1(VALU_DEP_2)
	v_mul_f32_e32 v115, 0x4f800000, v99
	v_cmp_gt_f32_e32 vcc_lo, 0xf800000, v99
	v_cndmask_b32_e32 v99, v99, v115, vcc_lo
	s_delay_alu instid0(VALU_DEP_1) | instskip(SKIP_1) | instid1(TRANS32_DEP_1)
	v_sqrt_f32_e32 v115, v99
	v_nop
	v_dual_add_nc_u32 v119, -1, v115 :: v_dual_add_nc_u32 v42, 1, v115
	s_delay_alu instid0(VALU_DEP_1) | instskip(NEXT) | instid1(VALU_DEP_1)
	v_dual_fma_f32 v62, -v119, v115, v99 :: v_dual_fma_f32 v63, -v42, v115, v99
	v_cmp_ge_f32_e64 s4, 0, v62
	s_delay_alu instid0(VALU_DEP_1) | instskip(NEXT) | instid1(VALU_DEP_3)
	v_cndmask_b32_e64 v115, v115, v119, s4
	v_cmp_lt_f32_e64 s4, 0, v63
	s_delay_alu instid0(VALU_DEP_1) | instskip(NEXT) | instid1(VALU_DEP_1)
	v_cndmask_b32_e64 v115, v115, v42, s4
	v_mul_f32_e32 v119, 0x37800000, v115
	s_delay_alu instid0(VALU_DEP_1) | instskip(SKIP_1) | instid1(VALU_DEP_2)
	v_cndmask_b32_e32 v115, v115, v119, vcc_lo
	v_cmp_class_f32_e64 vcc_lo, v99, 0x260
	v_cndmask_b32_e32 v99, v115, v99, vcc_lo
	s_delay_alu instid0(VALU_DEP_1) | instskip(NEXT) | instid1(VALU_DEP_1)
	v_div_scale_f32 v115, null, v99, v99, 1.0
	v_rcp_f32_e32 v119, v115
	v_nop
	s_delay_alu instid0(TRANS32_DEP_1) | instskip(NEXT) | instid1(VALU_DEP_1)
	v_fma_f32 v42, -v115, v119, 1.0
	v_fmac_f32_e32 v119, v42, v119
	v_div_scale_f32 v42, vcc_lo, 1.0, v99, 1.0
	s_delay_alu instid0(VALU_DEP_1) | instskip(NEXT) | instid1(VALU_DEP_1)
	v_mul_f32_e32 v62, v42, v119
	v_fma_f32 v63, -v115, v62, v42
	s_delay_alu instid0(VALU_DEP_1) | instskip(NEXT) | instid1(VALU_DEP_1)
	v_fmac_f32_e32 v62, v63, v119
	v_fma_f32 v115, -v115, v62, v42
	s_delay_alu instid0(VALU_DEP_1) | instskip(NEXT) | instid1(VALU_DEP_1)
	v_div_fmas_f32 v115, v115, v119, v62
	v_div_fixup_f32 v63, v115, v99, 1.0
	s_delay_alu instid0(VALU_DEP_1)
	v_mul_f32_e32 v62, v66, v63
.LBB6_79:                               ;   in Loop: Header=BB6_75 Depth=3
	s_and_not1_saveexec_b32 s19, s19
	s_cbranch_execz .LBB6_81
; %bb.80:                               ;   in Loop: Header=BB6_75 Depth=3
	v_div_scale_f32 v66, null, v44, v44, -v45
	v_div_scale_f32 v119, vcc_lo, -v45, v44, -v45
	s_delay_alu instid0(VALU_DEP_2) | instskip(SKIP_1) | instid1(TRANS32_DEP_1)
	v_rcp_f32_e32 v99, v66
	v_nop
	v_fma_f32 v115, -v66, v99, 1.0
	s_delay_alu instid0(VALU_DEP_1) | instskip(NEXT) | instid1(VALU_DEP_1)
	v_fmac_f32_e32 v99, v115, v99
	v_mul_f32_e32 v115, v119, v99
	s_delay_alu instid0(VALU_DEP_1) | instskip(NEXT) | instid1(VALU_DEP_1)
	v_fma_f32 v42, -v66, v115, v119
	v_fmac_f32_e32 v115, v42, v99
	s_delay_alu instid0(VALU_DEP_1) | instskip(NEXT) | instid1(VALU_DEP_1)
	v_fma_f32 v66, -v66, v115, v119
	v_div_fmas_f32 v66, v66, v99, v115
	s_delay_alu instid0(VALU_DEP_1) | instskip(NEXT) | instid1(VALU_DEP_1)
	v_div_fixup_f32 v66, v66, v44, -v45
	v_fma_f32 v99, v66, v66, 1.0
	s_delay_alu instid0(VALU_DEP_1) | instskip(SKIP_1) | instid1(VALU_DEP_2)
	v_mul_f32_e32 v115, 0x4f800000, v99
	v_cmp_gt_f32_e32 vcc_lo, 0xf800000, v99
	v_cndmask_b32_e32 v99, v99, v115, vcc_lo
	s_delay_alu instid0(VALU_DEP_1) | instskip(SKIP_1) | instid1(TRANS32_DEP_1)
	v_sqrt_f32_e32 v115, v99
	v_nop
	v_dual_add_nc_u32 v119, -1, v115 :: v_dual_add_nc_u32 v42, 1, v115
	s_delay_alu instid0(VALU_DEP_1) | instskip(NEXT) | instid1(VALU_DEP_1)
	v_dual_fma_f32 v62, -v119, v115, v99 :: v_dual_fma_f32 v63, -v42, v115, v99
	v_cmp_ge_f32_e64 s4, 0, v62
	s_delay_alu instid0(VALU_DEP_1) | instskip(NEXT) | instid1(VALU_DEP_3)
	v_cndmask_b32_e64 v115, v115, v119, s4
	v_cmp_lt_f32_e64 s4, 0, v63
	s_delay_alu instid0(VALU_DEP_1) | instskip(NEXT) | instid1(VALU_DEP_1)
	v_cndmask_b32_e64 v115, v115, v42, s4
	v_mul_f32_e32 v119, 0x37800000, v115
	s_delay_alu instid0(VALU_DEP_1) | instskip(SKIP_1) | instid1(VALU_DEP_2)
	v_cndmask_b32_e32 v115, v115, v119, vcc_lo
	v_cmp_class_f32_e64 vcc_lo, v99, 0x260
	v_cndmask_b32_e32 v99, v115, v99, vcc_lo
	s_delay_alu instid0(VALU_DEP_1) | instskip(NEXT) | instid1(VALU_DEP_1)
	v_div_scale_f32 v115, null, v99, v99, 1.0
	v_rcp_f32_e32 v119, v115
	v_nop
	s_delay_alu instid0(TRANS32_DEP_1) | instskip(NEXT) | instid1(VALU_DEP_1)
	v_fma_f32 v42, -v115, v119, 1.0
	v_fmac_f32_e32 v119, v42, v119
	v_div_scale_f32 v42, vcc_lo, 1.0, v99, 1.0
	s_delay_alu instid0(VALU_DEP_1) | instskip(NEXT) | instid1(VALU_DEP_1)
	v_mul_f32_e32 v62, v42, v119
	v_fma_f32 v63, -v115, v62, v42
	s_delay_alu instid0(VALU_DEP_1) | instskip(NEXT) | instid1(VALU_DEP_1)
	v_fmac_f32_e32 v62, v63, v119
	v_fma_f32 v115, -v115, v62, v42
	s_delay_alu instid0(VALU_DEP_1) | instskip(NEXT) | instid1(VALU_DEP_1)
	v_div_fmas_f32 v115, v115, v119, v62
	v_div_fixup_f32 v62, v115, v99, 1.0
	s_delay_alu instid0(VALU_DEP_1)
	v_mul_f32_e32 v63, v66, v62
.LBB6_81:                               ;   in Loop: Header=BB6_75 Depth=3
	s_or_b32 exec_lo, exec_lo, s19
	s_delay_alu instid0(VALU_DEP_1) | instskip(NEXT) | instid1(VALU_DEP_1)
	v_pk_mul_f32 v[44:45], v[44:45], v[62:63]
	v_sub_f32_e32 v66, v45, v44
.LBB6_82:                               ;   in Loop: Header=BB6_75 Depth=3
	s_and_not1_saveexec_b32 s4, s18
; %bb.83:                               ;   in Loop: Header=BB6_75 Depth=3
	v_dual_mov_b32 v62, 1.0 :: v_dual_mov_b32 v63, 0
; %bb.84:                               ;   in Loop: Header=BB6_75 Depth=3
	s_or_b32 exec_lo, exec_lo, s4
	s_delay_alu instid0(VALU_DEP_2)
	v_mov_b32_e32 v45, v66
.LBB6_85:                               ;   in Loop: Header=BB6_75 Depth=3
	s_or_b32 exec_lo, exec_lo, s17
	s_cmp_eq_u32 s16, 0
	s_cbranch_scc1 .LBB6_74
; %bb.86:                               ;   in Loop: Header=BB6_75 Depth=3
	flat_store_b32 v[58:59], v45 offset:4
	s_branch .LBB6_74
.LBB6_87:                               ;   in Loop: Header=BB6_49 Depth=2
	s_and_not1_b32 s5, s5, exec_lo
	ds_store_2addr_b32 v25, v118, v114 offset0:1 offset1:4
	s_or_b32 exec_lo, exec_lo, s9
	s_and_saveexec_b32 s4, s5
	s_cbranch_execnz .LBB6_60
	s_branch .LBB6_61
.LBB6_88:                               ;   in Loop: Header=BB6_49 Depth=2
	s_or_b32 exec_lo, exec_lo, s15
.LBB6_89:                               ;   in Loop: Header=BB6_49 Depth=2
	s_delay_alu instid0(SALU_CYCLE_1)
	s_or_b32 exec_lo, exec_lo, s14
	ds_load_b32 v24, v25 offset:8
.LBB6_90:                               ;   in Loop: Header=BB6_49 Depth=2
	s_or_b32 exec_lo, exec_lo, s13
	flat_load_b32 v66, v[116:117]
                                        ; implicit-def: $vgpr114
                                        ; implicit-def: $vgpr115
	s_wait_loadcnt_dscnt 0x0
	v_sub_f32_e32 v24, v66, v24
	flat_store_b32 v[116:117], v24
	flat_store_b32 v[40:41], v45
                                        ; implicit-def: $vgpr40_vgpr41
                                        ; implicit-def: $vgpr116_vgpr117
.LBB6_91:                               ;   in Loop: Header=BB6_49 Depth=2
	s_wait_xcnt 0x0
	s_and_not1_saveexec_b32 s13, s5
	s_cbranch_execz .LBB6_124
; %bb.92:                               ;   in Loop: Header=BB6_49 Depth=2
	v_lshl_add_u64 v[118:119], v[40:41], 2, v[22:23]
	s_mov_b32 s5, exec_lo
                                        ; implicit-def: $vgpr24
	flat_load_b32 v44, v[118:119]
	flat_load_b32 v42, v[116:117] offset:4
	s_wait_loadcnt_dscnt 0x0
	v_dual_add_f32 v66, v44, v44 :: v_dual_sub_f32 v99, v115, v42
	s_delay_alu instid0(VALU_DEP_1) | instskip(SKIP_1) | instid1(VALU_DEP_2)
	v_and_b32_e32 v43, 0x7fffffff, v66
	s_wait_xcnt 0x0
	v_cmpx_ngt_f32_e64 |v99|, |v66|
	s_xor_b32 s5, exec_lo, s5
	s_cbranch_execz .LBB6_98
; %bb.93:                               ;   in Loop: Header=BB6_49 Depth=2
	v_cmp_nlt_f32_e64 s4, |v99|, |v66|
                                        ; implicit-def: $vgpr24
	s_and_saveexec_b32 s14, s4
	s_delay_alu instid0(SALU_CYCLE_1)
	s_xor_b32 s4, exec_lo, s14
	s_cbranch_execz .LBB6_95
; %bb.94:                               ;   in Loop: Header=BB6_49 Depth=2
	v_cvt_f64_f32_e32 v[46:47], v43
                                        ; implicit-def: $vgpr43
	s_delay_alu instid0(VALU_DEP_1) | instskip(NEXT) | instid1(VALU_DEP_1)
	v_mul_f64_e32 v[46:47], 0x3ff6a09e667f3bcd, v[46:47]
	v_cvt_f32_f64_e32 v24, v[46:47]
.LBB6_95:                               ;   in Loop: Header=BB6_49 Depth=2
	s_and_not1_saveexec_b32 s14, s4
	s_cbranch_execz .LBB6_97
; %bb.96:                               ;   in Loop: Header=BB6_49 Depth=2
	v_and_b32_e32 v24, 0x7fffffff, v99
	s_delay_alu instid0(VALU_DEP_1) | instskip(SKIP_1) | instid1(VALU_DEP_2)
	v_div_scale_f32 v45, null, v43, v43, v24
	v_div_scale_f32 v24, vcc_lo, v24, v43, v24
	v_rcp_f32_e32 v46, v45
	v_nop
	s_delay_alu instid0(TRANS32_DEP_1) | instskip(NEXT) | instid1(VALU_DEP_1)
	v_fma_f32 v47, -v45, v46, 1.0
	v_fmac_f32_e32 v46, v47, v46
	s_delay_alu instid0(VALU_DEP_1) | instskip(NEXT) | instid1(VALU_DEP_1)
	v_mul_f32_e32 v43, v24, v46
	v_fma_f32 v47, -v45, v43, v24
	s_delay_alu instid0(VALU_DEP_1) | instskip(NEXT) | instid1(VALU_DEP_1)
	v_fmac_f32_e32 v43, v47, v46
	v_fma_f32 v24, -v45, v43, v24
	s_delay_alu instid0(VALU_DEP_1) | instskip(NEXT) | instid1(VALU_DEP_1)
	v_div_fmas_f32 v24, v24, v46, v43
	v_div_fixup_f32 v24, v24, |v66|, |v99|
	s_delay_alu instid0(VALU_DEP_1) | instskip(NEXT) | instid1(VALU_DEP_1)
	v_fma_f32 v24, v24, v24, 1.0
	v_mul_f32_e32 v43, 0x4f800000, v24
	v_cmp_gt_f32_e32 vcc_lo, 0xf800000, v24
	s_delay_alu instid0(VALU_DEP_2) | instskip(NEXT) | instid1(VALU_DEP_1)
	v_cndmask_b32_e32 v24, v24, v43, vcc_lo
	v_sqrt_f32_e32 v43, v24
	v_nop
	s_delay_alu instid0(TRANS32_DEP_1) | instskip(NEXT) | instid1(VALU_DEP_1)
	v_dual_add_nc_u32 v45, -1, v43 :: v_dual_add_nc_u32 v46, 1, v43
	v_dual_fma_f32 v47, -v45, v43, v24 :: v_dual_fma_f32 v56, -v46, v43, v24
	s_delay_alu instid0(VALU_DEP_1) | instskip(NEXT) | instid1(VALU_DEP_1)
	v_cmp_ge_f32_e64 s4, 0, v47
	v_cndmask_b32_e64 v43, v43, v45, s4
	s_delay_alu instid0(VALU_DEP_3) | instskip(NEXT) | instid1(VALU_DEP_1)
	v_cmp_lt_f32_e64 s4, 0, v56
	v_cndmask_b32_e64 v43, v43, v46, s4
	s_delay_alu instid0(VALU_DEP_1) | instskip(NEXT) | instid1(VALU_DEP_1)
	v_mul_f32_e32 v45, 0x37800000, v43
	v_cndmask_b32_e32 v43, v43, v45, vcc_lo
	v_cmp_class_f32_e64 vcc_lo, v24, 0x260
	s_delay_alu instid0(VALU_DEP_2) | instskip(NEXT) | instid1(VALU_DEP_1)
	v_cndmask_b32_e32 v24, v43, v24, vcc_lo
	v_mul_f32_e64 v24, |v66|, v24
.LBB6_97:                               ;   in Loop: Header=BB6_49 Depth=2
	s_or_b32 exec_lo, exec_lo, s14
                                        ; implicit-def: $vgpr43
.LBB6_98:                               ;   in Loop: Header=BB6_49 Depth=2
	s_and_not1_saveexec_b32 s5, s5
	s_cbranch_execz .LBB6_100
; %bb.99:                               ;   in Loop: Header=BB6_49 Depth=2
	v_and_b32_e32 v24, 0x7fffffff, v99
	s_delay_alu instid0(VALU_DEP_1) | instskip(SKIP_1) | instid1(VALU_DEP_2)
	v_div_scale_f32 v45, null, v24, v24, v43
	v_div_scale_f32 v24, vcc_lo, v43, v24, v43
	v_rcp_f32_e32 v46, v45
	v_nop
	s_delay_alu instid0(TRANS32_DEP_1) | instskip(NEXT) | instid1(VALU_DEP_1)
	v_fma_f32 v47, -v45, v46, 1.0
	v_fmac_f32_e32 v46, v47, v46
	s_delay_alu instid0(VALU_DEP_1) | instskip(NEXT) | instid1(VALU_DEP_1)
	v_mul_f32_e32 v43, v24, v46
	v_fma_f32 v47, -v45, v43, v24
	s_delay_alu instid0(VALU_DEP_1) | instskip(NEXT) | instid1(VALU_DEP_1)
	v_fmac_f32_e32 v43, v47, v46
	v_fma_f32 v24, -v45, v43, v24
	s_delay_alu instid0(VALU_DEP_1) | instskip(NEXT) | instid1(VALU_DEP_1)
	v_div_fmas_f32 v24, v24, v46, v43
	v_div_fixup_f32 v24, v24, |v99|, |v66|
	s_delay_alu instid0(VALU_DEP_1) | instskip(NEXT) | instid1(VALU_DEP_1)
	v_fma_f32 v24, v24, v24, 1.0
	v_mul_f32_e32 v43, 0x4f800000, v24
	v_cmp_gt_f32_e32 vcc_lo, 0xf800000, v24
	s_delay_alu instid0(VALU_DEP_2) | instskip(NEXT) | instid1(VALU_DEP_1)
	v_cndmask_b32_e32 v24, v24, v43, vcc_lo
	v_sqrt_f32_e32 v43, v24
	v_nop
	s_delay_alu instid0(TRANS32_DEP_1) | instskip(NEXT) | instid1(VALU_DEP_1)
	v_dual_add_nc_u32 v45, -1, v43 :: v_dual_add_nc_u32 v46, 1, v43
	v_dual_fma_f32 v47, -v45, v43, v24 :: v_dual_fma_f32 v56, -v46, v43, v24
	s_delay_alu instid0(VALU_DEP_1) | instskip(NEXT) | instid1(VALU_DEP_1)
	v_cmp_ge_f32_e64 s4, 0, v47
	v_cndmask_b32_e64 v43, v43, v45, s4
	s_delay_alu instid0(VALU_DEP_3) | instskip(NEXT) | instid1(VALU_DEP_1)
	v_cmp_lt_f32_e64 s4, 0, v56
	v_cndmask_b32_e64 v43, v43, v46, s4
	s_delay_alu instid0(VALU_DEP_1) | instskip(NEXT) | instid1(VALU_DEP_1)
	v_mul_f32_e32 v45, 0x37800000, v43
	v_cndmask_b32_e32 v43, v43, v45, vcc_lo
	v_cmp_class_f32_e64 vcc_lo, v24, 0x260
	s_delay_alu instid0(VALU_DEP_2) | instskip(NEXT) | instid1(VALU_DEP_1)
	v_cndmask_b32_e32 v24, v43, v24, vcc_lo
	v_mul_f32_e64 v24, |v99|, v24
.LBB6_100:                              ;   in Loop: Header=BB6_49 Depth=2
	s_or_b32 exec_lo, exec_lo, s5
	v_cmp_gt_f32_e64 vcc_lo, |v115|, |v42|
	v_add_f32_e32 v46, v115, v42
	s_mov_b32 s4, exec_lo
	v_dual_cndmask_b32 v45, v115, v42, vcc_lo :: v_dual_cndmask_b32 v47, v42, v115, vcc_lo
                                        ; implicit-def: $vgpr42_vgpr43
	s_delay_alu instid0(VALU_DEP_2)
	v_cmpx_ngt_f32_e32 0, v46
	s_xor_b32 s5, exec_lo, s4
	s_cbranch_execz .LBB6_106
; %bb.101:                              ;   in Loop: Header=BB6_49 Depth=2
	s_mov_b32 s4, exec_lo
                                        ; implicit-def: $vgpr42_vgpr43
	v_cmpx_nlt_f32_e32 0, v46
	s_xor_b32 s4, exec_lo, s4
; %bb.102:                              ;   in Loop: Header=BB6_49 Depth=2
	v_pk_mul_f32 v[42:43], v[24:25], v[54:55] op_sel_hi:[0,1]
                                        ; implicit-def: $vgpr46
                                        ; implicit-def: $vgpr47
                                        ; implicit-def: $vgpr45
                                        ; implicit-def: $vgpr44
; %bb.103:                              ;   in Loop: Header=BB6_49 Depth=2
	s_and_not1_saveexec_b32 s14, s4
	s_cbranch_execz .LBB6_105
; %bb.104:                              ;   in Loop: Header=BB6_49 Depth=2
	v_add_f32_e32 v115, v46, v24
	v_cvt_f64_f32_e32 v[46:47], v47
	v_cvt_f64_f32_e32 v[58:59], v44
	;; [unrolled: 1-line block ×3, first 2 shown]
	s_delay_alu instid0(VALU_DEP_4) | instskip(NEXT) | instid1(VALU_DEP_1)
	v_mul_f32_e32 v42, 0.5, v115
	v_cvt_f64_f32_e32 v[56:57], v42
	s_delay_alu instid0(VALU_DEP_1) | instskip(SKIP_2) | instid1(VALU_DEP_3)
	v_div_scale_f64 v[60:61], null, v[56:57], v[56:57], v[46:47]
	v_div_scale_f64 v[62:63], null, v[56:57], v[56:57], v[58:59]
	v_div_scale_f64 v[90:91], vcc_lo, v[46:47], v[56:57], v[46:47]
	v_rcp_f64_e32 v[74:75], v[60:61]
	s_delay_alu instid0(VALU_DEP_2) | instskip(NEXT) | instid1(TRANS32_DEP_2)
	v_rcp_f64_e32 v[76:77], v[62:63]
	v_fma_f64 v[78:79], -v[60:61], v[74:75], 1.0
	s_delay_alu instid0(TRANS32_DEP_1) | instskip(NEXT) | instid1(VALU_DEP_2)
	v_fma_f64 v[88:89], -v[62:63], v[76:77], 1.0
	v_fmac_f64_e32 v[74:75], v[74:75], v[78:79]
	s_delay_alu instid0(VALU_DEP_2) | instskip(NEXT) | instid1(VALU_DEP_2)
	v_fmac_f64_e32 v[76:77], v[76:77], v[88:89]
	v_fma_f64 v[78:79], -v[60:61], v[74:75], 1.0
	s_delay_alu instid0(VALU_DEP_2) | instskip(NEXT) | instid1(VALU_DEP_2)
	v_fma_f64 v[88:89], -v[62:63], v[76:77], 1.0
	v_fmac_f64_e32 v[74:75], v[74:75], v[78:79]
	v_div_scale_f64 v[78:79], s4, v[58:59], v[56:57], v[58:59]
	s_delay_alu instid0(VALU_DEP_3) | instskip(NEXT) | instid1(VALU_DEP_3)
	v_fmac_f64_e32 v[76:77], v[76:77], v[88:89]
	v_mul_f64_e32 v[88:89], v[90:91], v[74:75]
	s_delay_alu instid0(VALU_DEP_2) | instskip(NEXT) | instid1(VALU_DEP_2)
	v_mul_f64_e32 v[92:93], v[78:79], v[76:77]
	v_fma_f64 v[60:61], -v[60:61], v[88:89], v[90:91]
	s_delay_alu instid0(VALU_DEP_2) | instskip(NEXT) | instid1(VALU_DEP_2)
	v_fma_f64 v[62:63], -v[62:63], v[92:93], v[78:79]
	v_div_fmas_f64 v[60:61], v[60:61], v[74:75], v[88:89]
	s_mov_b32 vcc_lo, s4
	s_delay_alu instid0(VALU_DEP_2) | instskip(NEXT) | instid1(VALU_DEP_2)
	v_div_fmas_f64 v[62:63], v[62:63], v[76:77], v[92:93]
	v_div_fixup_f64 v[46:47], v[60:61], v[56:57], v[46:47]
	s_delay_alu instid0(VALU_DEP_2) | instskip(NEXT) | instid1(VALU_DEP_1)
	v_div_fixup_f64 v[62:63], v[62:63], v[56:57], v[58:59]
	v_mul_f64_e32 v[56:57], v[62:63], v[58:59]
	s_delay_alu instid0(VALU_DEP_1) | instskip(NEXT) | instid1(VALU_DEP_1)
	v_fma_f64 v[44:45], v[46:47], v[44:45], -v[56:57]
	v_cvt_f32_f64_e32 v43, v[44:45]
.LBB6_105:                              ;   in Loop: Header=BB6_49 Depth=2
	s_or_b32 exec_lo, exec_lo, s14
                                        ; implicit-def: $vgpr46
                                        ; implicit-def: $vgpr47
                                        ; implicit-def: $vgpr45
                                        ; implicit-def: $vgpr44
.LBB6_106:                              ;   in Loop: Header=BB6_49 Depth=2
	s_or_saveexec_b32 s5, s5
	v_mov_b32_e32 v115, 1
	s_xor_b32 exec_lo, exec_lo, s5
	s_cbranch_execz .LBB6_108
; %bb.107:                              ;   in Loop: Header=BB6_49 Depth=2
	v_sub_f32_e32 v115, v46, v24
	v_cvt_f64_f32_e32 v[46:47], v47
	v_cvt_f64_f32_e32 v[58:59], v44
	;; [unrolled: 1-line block ×3, first 2 shown]
	s_delay_alu instid0(VALU_DEP_4) | instskip(NEXT) | instid1(VALU_DEP_1)
	v_dual_mul_f32 v42, 0.5, v115 :: v_dual_mov_b32 v115, -1
	v_cvt_f64_f32_e32 v[56:57], v42
	s_delay_alu instid0(VALU_DEP_1) | instskip(SKIP_2) | instid1(VALU_DEP_3)
	v_div_scale_f64 v[60:61], null, v[56:57], v[56:57], v[46:47]
	v_div_scale_f64 v[62:63], null, v[56:57], v[56:57], v[58:59]
	v_div_scale_f64 v[90:91], vcc_lo, v[46:47], v[56:57], v[46:47]
	v_rcp_f64_e32 v[74:75], v[60:61]
	s_delay_alu instid0(VALU_DEP_2) | instskip(NEXT) | instid1(TRANS32_DEP_2)
	v_rcp_f64_e32 v[76:77], v[62:63]
	v_fma_f64 v[78:79], -v[60:61], v[74:75], 1.0
	s_delay_alu instid0(TRANS32_DEP_1) | instskip(NEXT) | instid1(VALU_DEP_2)
	v_fma_f64 v[88:89], -v[62:63], v[76:77], 1.0
	v_fmac_f64_e32 v[74:75], v[74:75], v[78:79]
	s_delay_alu instid0(VALU_DEP_2) | instskip(NEXT) | instid1(VALU_DEP_2)
	v_fmac_f64_e32 v[76:77], v[76:77], v[88:89]
	v_fma_f64 v[78:79], -v[60:61], v[74:75], 1.0
	s_delay_alu instid0(VALU_DEP_2) | instskip(NEXT) | instid1(VALU_DEP_2)
	v_fma_f64 v[88:89], -v[62:63], v[76:77], 1.0
	v_fmac_f64_e32 v[74:75], v[74:75], v[78:79]
	v_div_scale_f64 v[78:79], s4, v[58:59], v[56:57], v[58:59]
	s_delay_alu instid0(VALU_DEP_3) | instskip(NEXT) | instid1(VALU_DEP_3)
	v_fmac_f64_e32 v[76:77], v[76:77], v[88:89]
	v_mul_f64_e32 v[88:89], v[90:91], v[74:75]
	s_delay_alu instid0(VALU_DEP_2) | instskip(NEXT) | instid1(VALU_DEP_2)
	v_mul_f64_e32 v[92:93], v[78:79], v[76:77]
	v_fma_f64 v[60:61], -v[60:61], v[88:89], v[90:91]
	s_delay_alu instid0(VALU_DEP_2) | instskip(NEXT) | instid1(VALU_DEP_2)
	v_fma_f64 v[62:63], -v[62:63], v[92:93], v[78:79]
	v_div_fmas_f64 v[60:61], v[60:61], v[74:75], v[88:89]
	s_mov_b32 vcc_lo, s4
	s_delay_alu instid0(VALU_DEP_2) | instskip(NEXT) | instid1(VALU_DEP_2)
	v_div_fmas_f64 v[62:63], v[62:63], v[76:77], v[92:93]
	v_div_fixup_f64 v[46:47], v[60:61], v[56:57], v[46:47]
	s_delay_alu instid0(VALU_DEP_2) | instskip(NEXT) | instid1(VALU_DEP_1)
	v_div_fixup_f64 v[62:63], v[62:63], v[56:57], v[58:59]
	v_mul_f64_e32 v[56:57], v[62:63], v[58:59]
	s_delay_alu instid0(VALU_DEP_1) | instskip(NEXT) | instid1(VALU_DEP_1)
	v_fma_f64 v[44:45], v[46:47], v[44:45], -v[56:57]
	v_cvt_f32_f64_e32 v43, v[44:45]
.LBB6_108:                              ;   in Loop: Header=BB6_49 Depth=2
	s_or_b32 exec_lo, exec_lo, s5
	v_cmp_nle_f32_e64 s4, 0, v99
	s_mov_b32 s14, exec_lo
                                        ; implicit-def: $vgpr44
	v_cndmask_b32_e64 v24, v24, -v24, s4
	s_delay_alu instid0(VALU_DEP_1) | instskip(NEXT) | instid1(VALU_DEP_1)
	v_add_f32_e32 v24, v99, v24
                                        ; implicit-def: $vgpr99
	v_cmpx_ngt_f32_e64 |v24|, |v66|
	s_xor_b32 s14, exec_lo, s14
	s_cbranch_execz .LBB6_112
; %bb.109:                              ;   in Loop: Header=BB6_49 Depth=2
	v_dual_mov_b32 v99, 0 :: v_dual_mov_b32 v44, 1.0
	s_mov_b32 s15, exec_lo
	v_cmpx_neq_f32_e32 0, v66
	s_cbranch_execz .LBB6_111
; %bb.110:                              ;   in Loop: Header=BB6_49 Depth=2
	v_div_scale_f32 v99, null, v66, v66, -v24
	v_div_scale_f32 v46, vcc_lo, -v24, v66, -v24
	s_delay_alu instid0(VALU_DEP_2) | instskip(SKIP_1) | instid1(TRANS32_DEP_1)
	v_rcp_f32_e32 v44, v99
	v_nop
	v_fma_f32 v45, -v99, v44, 1.0
	s_delay_alu instid0(VALU_DEP_1) | instskip(NEXT) | instid1(VALU_DEP_1)
	v_fmac_f32_e32 v44, v45, v44
	v_mul_f32_e32 v45, v46, v44
	s_delay_alu instid0(VALU_DEP_1) | instskip(NEXT) | instid1(VALU_DEP_1)
	v_fma_f32 v47, -v99, v45, v46
	v_fmac_f32_e32 v45, v47, v44
	s_delay_alu instid0(VALU_DEP_1) | instskip(NEXT) | instid1(VALU_DEP_1)
	v_fma_f32 v99, -v99, v45, v46
	v_div_fmas_f32 v99, v99, v44, v45
	s_delay_alu instid0(VALU_DEP_1) | instskip(NEXT) | instid1(VALU_DEP_1)
	v_div_fixup_f32 v24, v99, v66, -v24
	v_fma_f32 v66, v24, v24, 1.0
	s_delay_alu instid0(VALU_DEP_1) | instskip(SKIP_1) | instid1(VALU_DEP_2)
	v_mul_f32_e32 v99, 0x4f800000, v66
	v_cmp_gt_f32_e32 vcc_lo, 0xf800000, v66
	v_cndmask_b32_e32 v66, v66, v99, vcc_lo
	s_delay_alu instid0(VALU_DEP_1) | instskip(SKIP_1) | instid1(TRANS32_DEP_1)
	v_sqrt_f32_e32 v99, v66
	v_nop
	v_dual_add_nc_u32 v44, -1, v99 :: v_dual_add_nc_u32 v45, 1, v99
	s_delay_alu instid0(VALU_DEP_1) | instskip(NEXT) | instid1(VALU_DEP_1)
	v_fma_f32 v46, -v44, v99, v66
	v_cmp_ge_f32_e64 s5, 0, v46
	s_delay_alu instid0(VALU_DEP_1) | instskip(NEXT) | instid1(VALU_DEP_1)
	v_dual_fma_f32 v47, -v45, v99, v66 :: v_dual_cndmask_b32 v99, v99, v44, s5
	v_cmp_lt_f32_e64 s5, 0, v47
	s_delay_alu instid0(VALU_DEP_1) | instskip(NEXT) | instid1(VALU_DEP_1)
	v_cndmask_b32_e64 v99, v99, v45, s5
	v_mul_f32_e32 v44, 0x37800000, v99
	s_delay_alu instid0(VALU_DEP_1) | instskip(SKIP_1) | instid1(VALU_DEP_2)
	v_cndmask_b32_e32 v99, v99, v44, vcc_lo
	v_cmp_class_f32_e64 vcc_lo, v66, 0x260
	v_cndmask_b32_e32 v66, v99, v66, vcc_lo
	s_delay_alu instid0(VALU_DEP_1) | instskip(NEXT) | instid1(VALU_DEP_1)
	v_div_scale_f32 v99, null, v66, v66, 1.0
	v_rcp_f32_e32 v44, v99
	v_nop
	s_delay_alu instid0(TRANS32_DEP_1) | instskip(NEXT) | instid1(VALU_DEP_1)
	v_fma_f32 v45, -v99, v44, 1.0
	v_fmac_f32_e32 v44, v45, v44
	v_div_scale_f32 v45, vcc_lo, 1.0, v66, 1.0
	s_delay_alu instid0(VALU_DEP_1) | instskip(NEXT) | instid1(VALU_DEP_1)
	v_mul_f32_e32 v46, v45, v44
	v_fma_f32 v47, -v99, v46, v45
	s_delay_alu instid0(VALU_DEP_1) | instskip(NEXT) | instid1(VALU_DEP_1)
	v_fmac_f32_e32 v46, v47, v44
	v_fma_f32 v99, -v99, v46, v45
	s_delay_alu instid0(VALU_DEP_1) | instskip(NEXT) | instid1(VALU_DEP_1)
	v_div_fmas_f32 v99, v99, v44, v46
	v_div_fixup_f32 v44, v99, v66, 1.0
	s_delay_alu instid0(VALU_DEP_1)
	v_mul_f32_e32 v99, v24, v44
.LBB6_111:                              ;   in Loop: Header=BB6_49 Depth=2
	s_or_b32 exec_lo, exec_lo, s15
                                        ; implicit-def: $vgpr24
                                        ; implicit-def: $vgpr66
.LBB6_112:                              ;   in Loop: Header=BB6_49 Depth=2
	s_and_not1_saveexec_b32 s14, s14
	s_cbranch_execz .LBB6_114
; %bb.113:                              ;   in Loop: Header=BB6_49 Depth=2
	v_div_scale_f32 v99, null, v24, v24, -v66
	v_div_scale_f32 v46, vcc_lo, -v66, v24, -v66
	s_delay_alu instid0(VALU_DEP_2) | instskip(SKIP_1) | instid1(TRANS32_DEP_1)
	v_rcp_f32_e32 v44, v99
	v_nop
	v_fma_f32 v45, -v99, v44, 1.0
	s_delay_alu instid0(VALU_DEP_1) | instskip(NEXT) | instid1(VALU_DEP_1)
	v_fmac_f32_e32 v44, v45, v44
	v_mul_f32_e32 v45, v46, v44
	s_delay_alu instid0(VALU_DEP_1) | instskip(NEXT) | instid1(VALU_DEP_1)
	v_fma_f32 v47, -v99, v45, v46
	v_fmac_f32_e32 v45, v47, v44
	s_delay_alu instid0(VALU_DEP_1) | instskip(NEXT) | instid1(VALU_DEP_1)
	v_fma_f32 v99, -v99, v45, v46
	v_div_fmas_f32 v99, v99, v44, v45
	s_delay_alu instid0(VALU_DEP_1) | instskip(NEXT) | instid1(VALU_DEP_1)
	v_div_fixup_f32 v24, v99, v24, -v66
	v_fma_f32 v66, v24, v24, 1.0
	s_delay_alu instid0(VALU_DEP_1) | instskip(SKIP_1) | instid1(VALU_DEP_2)
	v_mul_f32_e32 v99, 0x4f800000, v66
	v_cmp_gt_f32_e32 vcc_lo, 0xf800000, v66
	v_cndmask_b32_e32 v66, v66, v99, vcc_lo
	s_delay_alu instid0(VALU_DEP_1) | instskip(SKIP_1) | instid1(TRANS32_DEP_1)
	v_sqrt_f32_e32 v99, v66
	v_nop
	v_dual_add_nc_u32 v44, -1, v99 :: v_dual_add_nc_u32 v45, 1, v99
	s_delay_alu instid0(VALU_DEP_1) | instskip(NEXT) | instid1(VALU_DEP_1)
	v_fma_f32 v46, -v44, v99, v66
	v_cmp_ge_f32_e64 s5, 0, v46
	s_delay_alu instid0(VALU_DEP_1) | instskip(NEXT) | instid1(VALU_DEP_1)
	v_dual_fma_f32 v47, -v45, v99, v66 :: v_dual_cndmask_b32 v99, v99, v44, s5
	v_cmp_lt_f32_e64 s5, 0, v47
	s_delay_alu instid0(VALU_DEP_1) | instskip(NEXT) | instid1(VALU_DEP_1)
	v_cndmask_b32_e64 v99, v99, v45, s5
	v_mul_f32_e32 v44, 0x37800000, v99
	s_delay_alu instid0(VALU_DEP_1) | instskip(SKIP_1) | instid1(VALU_DEP_2)
	v_cndmask_b32_e32 v99, v99, v44, vcc_lo
	v_cmp_class_f32_e64 vcc_lo, v66, 0x260
	v_cndmask_b32_e32 v66, v99, v66, vcc_lo
	s_delay_alu instid0(VALU_DEP_1) | instskip(NEXT) | instid1(VALU_DEP_1)
	v_div_scale_f32 v99, null, v66, v66, 1.0
	v_rcp_f32_e32 v44, v99
	v_nop
	s_delay_alu instid0(TRANS32_DEP_1) | instskip(NEXT) | instid1(VALU_DEP_1)
	v_fma_f32 v45, -v99, v44, 1.0
	v_fmac_f32_e32 v44, v45, v44
	v_div_scale_f32 v45, vcc_lo, 1.0, v66, 1.0
	s_delay_alu instid0(VALU_DEP_1) | instskip(NEXT) | instid1(VALU_DEP_1)
	v_mul_f32_e32 v46, v45, v44
	v_fma_f32 v47, -v99, v46, v45
	s_delay_alu instid0(VALU_DEP_1) | instskip(NEXT) | instid1(VALU_DEP_1)
	v_fmac_f32_e32 v46, v47, v44
	v_fma_f32 v99, -v99, v46, v45
	s_delay_alu instid0(VALU_DEP_1) | instskip(NEXT) | instid1(VALU_DEP_1)
	v_div_fmas_f32 v99, v99, v44, v46
	v_div_fixup_f32 v99, v99, v66, 1.0
	s_delay_alu instid0(VALU_DEP_1)
	v_mul_f32_e32 v44, v24, v99
.LBB6_114:                              ;   in Loop: Header=BB6_49 Depth=2
	s_or_b32 exec_lo, exec_lo, s14
	v_cndmask_b32_e64 v24, 1, -1, s4
	v_lshl_add_u64 v[40:41], v[40:41], 2, v[12:13]
	s_delay_alu instid0(VALU_DEP_2) | instskip(SKIP_2) | instid1(VALU_DEP_4)
	v_cmp_eq_u32_e32 vcc_lo, v115, v24
	v_dual_cndmask_b32 v24, v99, v44, vcc_lo :: v_dual_cndmask_b32 v66, v44, -v99, vcc_lo
	v_add_nc_u32_e32 v99, 2, v114
	v_lshl_add_u64 v[44:45], v[2:3], 2, v[40:41]
	s_clause 0x1
	flat_store_b32 v[40:41], v66
	flat_store_b32 v[44:45], v24 offset:-4
	flat_store_b64 v[116:117], v[42:43]
	flat_store_b32 v[118:119], v25
	ds_store_b32 v25, v99
	s_wait_xcnt 0x0
	s_or_b32 exec_lo, exec_lo, s13
                                        ; implicit-def: $vgpr116_vgpr117
                                        ; implicit-def: $vgpr115
                                        ; implicit-def: $vgpr114
.LBB6_115:                              ;   in Loop: Header=BB6_49 Depth=2
	s_and_not1_saveexec_b32 s4, s9
	s_cbranch_execz .LBB6_117
.LBB6_116:                              ;   in Loop: Header=BB6_49 Depth=2
	v_add_nc_u32_e32 v24, 1, v114
	flat_store_b32 v[116:117], v115
	ds_store_b32 v25, v24
.LBB6_117:                              ;   in Loop: Header=BB6_49 Depth=2
	s_wait_xcnt 0x0
	s_or_b32 exec_lo, exec_lo, s4
.LBB6_118:                              ;   in Loop: Header=BB6_49 Depth=2
	s_delay_alu instid0(SALU_CYCLE_1)
	s_or_b32 exec_lo, exec_lo, s8
	s_wait_storecnt_dscnt 0x0
	s_barrier_signal -1
	s_barrier_wait -1
	ds_load_b64 v[114:115], v25
	s_wait_dscnt 0x0
	v_cmp_eq_u32_e32 vcc_lo, v115, v114
	s_cbranch_vccnz .LBB6_48
; %bb.119:                              ;   in Loop: Header=BB6_49 Depth=2
	s_and_saveexec_b32 s5, s2
	s_cbranch_execz .LBB6_47
; %bb.120:                              ;   in Loop: Header=BB6_49 Depth=2
	ds_load_b32 v116, v25 offset:16
	s_mov_b32 s8, 0
	s_wait_dscnt 0x0
	v_mul_lo_u32 v118, v116, v20
	v_dual_sub_nc_u32 v114, v115, v116 :: v_dual_ashrrev_i32 v117, 31, v116
	s_delay_alu instid0(VALU_DEP_1) | instskip(NEXT) | instid1(VALU_DEP_3)
	v_lshlrev_b64_e32 v[44:45], 2, v[116:117]
	v_ashrrev_i32_e32 v119, 31, v118
	s_delay_alu instid0(VALU_DEP_3) | instskip(SKIP_1) | instid1(VALU_DEP_3)
	v_dual_ashrrev_i32 v115, 31, v114 :: v_dual_add_nc_u32 v24, -1, v114
	v_cmp_lt_i32_e64 s4, 0, v114
	v_lshlrev_b64_e32 v[118:119], 2, v[118:119]
	s_delay_alu instid0(VALU_DEP_3) | instskip(NEXT) | instid1(VALU_DEP_4)
	v_mul_u64_e32 v[40:41], v[114:115], v[20:21]
	v_lshlrev_b64_e32 v[46:47], 2, v[24:25]
	s_delay_alu instid0(VALU_DEP_3) | instskip(SKIP_1) | instid1(VALU_DEP_3)
	v_mad_nc_u64_u32 v[42:43], v30, v24, v[118:119]
	v_add_nc_u64_e32 v[116:117], v[8:9], v[118:119]
	v_add_nc_u64_e32 v[44:45], v[44:45], v[46:47]
	s_delay_alu instid0(VALU_DEP_3) | instskip(NEXT) | instid1(VALU_DEP_1)
	v_mad_u32 v43, v31, v24, v43
	v_add_nc_u64_e32 v[42:43], v[64:65], v[42:43]
	s_delay_alu instid0(VALU_DEP_4) | instskip(NEXT) | instid1(VALU_DEP_4)
	v_lshl_add_u64 v[118:119], v[40:41], 2, v[116:117]
	v_add_nc_u64_e32 v[40:41], v[12:13], v[44:45]
	v_mov_b32_e32 v44, v0
	s_branch .LBB6_122
.LBB6_121:                              ;   in Loop: Header=BB6_122 Depth=3
	v_add_nc_u32_e32 v44, v44, v6
	v_add_nc_u64_e32 v[42:43], v[42:43], v[38:39]
	s_wait_loadcnt_dscnt 0x0
	flat_store_b32 v[46:47], v56
	v_cmp_ge_i32_e32 vcc_lo, v44, v2
	s_or_b32 s8, vcc_lo, s8
	s_wait_xcnt 0x0
	s_and_not1_b32 exec_lo, exec_lo, s8
	s_cbranch_execz .LBB6_47
.LBB6_122:                              ;   Parent Loop BB6_6 Depth=1
                                        ;     Parent Loop BB6_49 Depth=2
                                        ; =>    This Loop Header: Depth=3
                                        ;         Child Loop BB6_123 Depth 4
	s_delay_alu instid0(VALU_DEP_1) | instskip(SKIP_1) | instid1(VALU_DEP_4)
	v_dual_mov_b32 v24, v114 :: v_dual_ashrrev_i32 v45, 31, v44
	v_mov_b64_e32 v[58:59], v[42:43]
	v_mov_b64_e32 v[60:61], v[40:41]
	s_and_not1_b32 vcc_lo, exec_lo, s4
	s_delay_alu instid0(VALU_DEP_3) | instskip(NEXT) | instid1(VALU_DEP_1)
	v_lshlrev_b64_e32 v[46:47], 2, v[44:45]
	v_add_nc_u64_e32 v[56:57], v[118:119], v[46:47]
	v_add_nc_u64_e32 v[46:47], v[116:117], v[46:47]
	flat_load_b32 v56, v[56:57]
	s_cbranch_vccnz .LBB6_121
.LBB6_123:                              ;   Parent Loop BB6_6 Depth=1
                                        ;     Parent Loop BB6_49 Depth=2
                                        ;       Parent Loop BB6_122 Depth=3
                                        ; =>      This Inner Loop Header: Depth=4
	s_wait_xcnt 0x0
	v_add_nc_u64_e32 v[62:63], v[60:61], v[32:33]
	flat_load_b32 v74, v[60:61]
	flat_load_b32 v75, v[58:59]
	;; [unrolled: 1-line block ×3, first 2 shown]
	s_wait_xcnt 0x0
	v_mul_u64_e32 v[62:63], v[24:25], v[20:21]
	s_wait_loadcnt_dscnt 0x303
	v_mov_b32_e32 v76, v56
	v_add_nc_u64_e32 v[60:61], -4, v[60:61]
	v_add_nc_u64_e32 v[58:59], v[58:59], v[50:51]
	v_add_nc_u32_e32 v24, -1, v24
	s_delay_alu instid0(VALU_DEP_1)
	v_cmp_eq_u32_e32 vcc_lo, 0, v24
	s_and_b32 vcc_lo, exec_lo, vcc_lo
	v_lshl_add_u64 v[62:63], v[62:63], 2, v[46:47]
	s_wait_loadcnt_dscnt 0x202
	v_mov_b32_e32 v77, v74
	s_wait_loadcnt_dscnt 0x0
	v_pk_mul_f32 v[78:79], v[56:57], v[74:75]
	v_mov_b32_e32 v74, v57
	s_delay_alu instid0(VALU_DEP_1) | instskip(NEXT) | instid1(VALU_DEP_1)
	v_pk_mul_f32 v[56:57], v[76:77], v[74:75]
	v_dual_sub_f32 v66, v78, v79 :: v_dual_add_f32 v56, v56, v57
	flat_store_b32 v[62:63], v66
	s_cbranch_vccz .LBB6_123
	s_branch .LBB6_121
.LBB6_124:                              ;   in Loop: Header=BB6_49 Depth=2
	s_or_b32 exec_lo, exec_lo, s13
                                        ; implicit-def: $vgpr116_vgpr117
                                        ; implicit-def: $vgpr115
                                        ; implicit-def: $vgpr114
	s_and_not1_saveexec_b32 s4, s9
	s_cbranch_execnz .LBB6_116
	s_branch .LBB6_117
.LBB6_125:                              ;   in Loop: Header=BB6_6 Depth=1
	s_ashr_i32 s7, s6, 31
	s_mov_b32 s16, 0
	s_lshl_b64 s[4:5], s[6:7], 2
	s_mov_b64 s[8:9], s[6:7]
	v_add_nc_u64_e32 v[96:97], s[4:5], v[26:27]
	v_add_nc_u64_e32 v[98:99], s[4:5], v[22:23]
                                        ; implicit-def: $sgpr17
                                        ; implicit-def: $sgpr19
                                        ; implicit-def: $sgpr18
	s_branch .LBB6_127
.LBB6_126:                              ;   in Loop: Header=BB6_127 Depth=2
	s_or_b32 exec_lo, exec_lo, s3
	s_xor_b32 s3, s18, -1
	s_and_b32 s20, exec_lo, s19
	v_mov_b64_e32 v[86:87], s[8:9]
	s_or_b32 s16, s20, s16
	s_and_not1_b32 s8, s17, exec_lo
	s_and_b32 s3, s3, exec_lo
	s_delay_alu instid0(SALU_CYCLE_1)
	s_or_b32 s17, s8, s3
	s_mov_b64 s[8:9], s[4:5]
	s_and_not1_b32 exec_lo, exec_lo, s16
	s_cbranch_execz .LBB6_129
.LBB6_127:                              ;   Parent Loop BB6_6 Depth=1
                                        ; =>  This Inner Loop Header: Depth=2
	flat_load_b64 v[86:87], v[96:97] offset:-4
	flat_load_b32 v19, v[98:99]
	v_mov_b64_e32 v[82:83], v[98:99]
	s_or_b32 s18, s18, exec_lo
	s_or_b32 s19, s19, exec_lo
	s_wait_loadcnt_dscnt 0x101
	v_mul_f32_e64 v24, 0x4f800000, |v86|
	v_cmp_gt_f32_e64 vcc_lo, 0xf800000, |v86|
	v_mul_f32_e64 v66, 0x4f800000, |v87|
	v_cmp_gt_f32_e64 s3, 0xf800000, |v87|
	s_delay_alu instid0(VALU_DEP_3) | instskip(NEXT) | instid1(VALU_DEP_2)
	v_cndmask_b32_e64 v24, |v86|, v24, vcc_lo
	v_cndmask_b32_e64 v66, |v87|, v66, s3
	s_delay_alu instid0(VALU_DEP_2) | instskip(NEXT) | instid1(VALU_DEP_1)
	v_sqrt_f32_e32 v86, v24
	v_sqrt_f32_e32 v87, v66
	s_wait_xcnt 0x0
	s_delay_alu instid0(TRANS32_DEP_2) | instskip(NEXT) | instid1(TRANS32_DEP_1)
	v_dual_add_nc_u32 v98, -1, v86 :: v_dual_add_nc_u32 v100, 1, v86
	v_dual_add_nc_u32 v101, 1, v87 :: v_dual_add_nc_u32 v99, -1, v87
	s_delay_alu instid0(VALU_DEP_2) | instskip(NEXT) | instid1(VALU_DEP_2)
	v_dual_fma_f32 v102, -v98, v86, v24 :: v_dual_fma_f32 v112, -v100, v86, v24
	v_dual_fma_f32 v113, -v101, v87, v66 :: v_dual_fma_f32 v103, -v99, v87, v66
	s_delay_alu instid0(VALU_DEP_2) | instskip(NEXT) | instid1(VALU_DEP_1)
	v_cmp_ge_f32_e64 s4, 0, v102
	v_cndmask_b32_e64 v86, v86, v98, s4
	s_delay_alu instid0(VALU_DEP_3) | instskip(NEXT) | instid1(VALU_DEP_1)
	v_cmp_ge_f32_e64 s4, 0, v103
	v_cndmask_b32_e64 v87, v87, v99, s4
	v_cmp_lt_f32_e64 s4, 0, v112
	s_delay_alu instid0(VALU_DEP_1) | instskip(SKIP_1) | instid1(VALU_DEP_1)
	v_cndmask_b32_e64 v86, v86, v100, s4
	v_cmp_lt_f32_e64 s4, 0, v113
	v_cndmask_b32_e64 v87, v87, v101, s4
	s_delay_alu instid0(VALU_DEP_3) | instskip(NEXT) | instid1(VALU_DEP_1)
	v_mul_f32_e32 v98, 0x37800000, v86
                                        ; implicit-def: $sgpr4_sgpr5
	v_dual_mul_f32 v99, 0x37800000, v87 :: v_dual_cndmask_b32 v86, v86, v98
	v_cmp_class_f32_e64 vcc_lo, v24, 0x260
	s_delay_alu instid0(VALU_DEP_2) | instskip(SKIP_3) | instid1(VALU_DEP_3)
	v_cndmask_b32_e64 v87, v87, v99, s3
	s_mov_b32 s3, exec_lo
	v_cndmask_b32_e32 v24, v86, v24, vcc_lo
	v_cmp_class_f32_e64 vcc_lo, v66, 0x260
                                        ; implicit-def: $vgpr98_vgpr99
	v_cndmask_b32_e32 v66, v87, v66, vcc_lo
	s_delay_alu instid0(VALU_DEP_1) | instskip(NEXT) | instid1(VALU_DEP_1)
	v_mul_f32_e32 v24, v24, v66
	v_mul_f32_e32 v24, v15, v24
	s_wait_loadcnt_dscnt 0x0
	s_delay_alu instid0(VALU_DEP_1)
	v_cmpx_nle_f32_e64 |v19|, v24
	s_cbranch_execz .LBB6_126
; %bb.128:                              ;   in Loop: Header=BB6_127 Depth=2
	s_add_nc_u64 s[4:5], s[8:9], 1
	v_add_nc_u64_e32 v[96:97], 4, v[96:97]
	v_cmp_ge_i32_e32 vcc_lo, s4, v18
	v_add_nc_u64_e32 v[98:99], 4, v[82:83]
	s_and_not1_b32 s19, s19, exec_lo
	s_and_not1_b32 s18, s18, exec_lo
	s_and_b32 s20, vcc_lo, exec_lo
	s_delay_alu instid0(SALU_CYCLE_1)
	s_or_b32 s19, s19, s20
	s_branch .LBB6_126
.LBB6_129:                              ;   in Loop: Header=BB6_6 Depth=1
	s_or_b32 exec_lo, exec_lo, s16
	s_mov_b32 s3, -1
	s_mov_b32 s4, s14
                                        ; implicit-def: $vgpr98_vgpr99
	s_and_saveexec_b32 s5, s17
	s_delay_alu instid0(SALU_CYCLE_1)
	s_xor_b32 s5, exec_lo, s5
; %bb.130:                              ;   in Loop: Header=BB6_6 Depth=1
	v_ashrrev_i32_e32 v19, 31, v18
	s_xor_b32 s3, exec_lo, -1
	s_or_b32 s4, s14, exec_lo
	s_delay_alu instid0(VALU_DEP_1)
	v_mov_b64_e32 v[98:99], v[18:19]
; %bb.131:                              ;   in Loop: Header=BB6_6 Depth=1
	s_or_b32 exec_lo, exec_lo, s5
	v_mov_b64_e32 v[96:97], s[6:7]
	v_mov_b64_e32 v[100:101], s[6:7]
	v_mov_b32_e32 v19, v18
	s_and_not1_b32 s5, s14, exec_lo
	s_and_b32 s4, s4, exec_lo
	s_and_b32 s3, s3, exec_lo
	s_or_b32 s14, s5, s4
	s_or_b32 exec_lo, exec_lo, s15
	s_and_saveexec_b32 s4, s14
	s_cbranch_execz .LBB6_13
.LBB6_132:                              ;   in Loop: Header=BB6_6 Depth=1
	ds_store_b32 v25, v19 offset:4
	s_or_b32 exec_lo, exec_lo, s4
	s_and_saveexec_b32 s4, s3
	s_cbranch_execnz .LBB6_14
	s_branch .LBB6_15
.LBB6_133:                              ;   in Loop: Header=BB6_6 Depth=1
	s_or_b32 exec_lo, exec_lo, s7
.LBB6_134:                              ;   in Loop: Header=BB6_6 Depth=1
	s_delay_alu instid0(SALU_CYCLE_1)
	s_or_b32 exec_lo, exec_lo, s6
	s_mov_b32 s4, 0
.LBB6_135:                              ;   in Loop: Header=BB6_6 Depth=1
	s_delay_alu instid0(SALU_CYCLE_1)
	s_and_not1_b32 vcc_lo, exec_lo, s4
	s_cbranch_vccnz .LBB6_217
; %bb.136:                              ;   in Loop: Header=BB6_6 Depth=1
	s_and_saveexec_b32 s5, s3
	s_cbranch_execz .LBB6_219
; %bb.137:                              ;   in Loop: Header=BB6_6 Depth=1
	s_mov_b32 s6, 0
	s_branch .LBB6_140
.LBB6_138:                              ;   in Loop: Header=BB6_140 Depth=2
	v_mov_b32_e32 v98, v101
.LBB6_139:                              ;   in Loop: Header=BB6_140 Depth=2
	ds_load_2addr_b32 v[100:101], v25 offset0:5 offset1:7
	s_wait_dscnt 0x0
	v_cmp_lt_i32_e32 vcc_lo, v98, v100
	v_cmp_ge_i32_e64 s3, v101, v14
	s_or_b32 s3, vcc_lo, s3
	s_delay_alu instid0(SALU_CYCLE_1) | instskip(NEXT) | instid1(SALU_CYCLE_1)
	s_and_b32 s3, exec_lo, s3
	s_or_b32 s6, s3, s6
	s_delay_alu instid0(SALU_CYCLE_1)
	s_and_not1_b32 exec_lo, exec_lo, s6
	s_cbranch_execz .LBB6_218
.LBB6_140:                              ;   Parent Loop BB6_6 Depth=1
                                        ; =>  This Loop Header: Depth=2
                                        ;       Child Loop BB6_146 Depth 3
                                        ;       Child Loop BB6_166 Depth 3
	;; [unrolled: 1-line block ×3, first 2 shown]
                                        ;         Child Loop BB6_214 Depth 4
	s_and_saveexec_b32 s7, s0
	s_cbranch_execz .LBB6_209
; %bb.141:                              ;   in Loop: Header=BB6_140 Depth=2
	v_cmp_gt_i32_e32 vcc_lo, v98, v100
	s_mov_b32 s4, 0
	s_cbranch_vccnz .LBB6_143
; %bb.142:                              ;   in Loop: Header=BB6_140 Depth=2
	v_ashrrev_i32_e32 v99, 31, v98
	s_mov_b32 s3, -1
	s_delay_alu instid0(VALU_DEP_1)
	v_mov_b64_e32 v[114:115], v[98:99]
	v_mov_b32_e32 v112, v98
	s_cbranch_execz .LBB6_144
	s_branch .LBB6_149
.LBB6_143:                              ;   in Loop: Header=BB6_140 Depth=2
	s_mov_b32 s3, 0
                                        ; implicit-def: $vgpr114_vgpr115
	v_mov_b32_e32 v112, v98
.LBB6_144:                              ;   in Loop: Header=BB6_140 Depth=2
	v_dual_ashrrev_i32 v99, 31, v98 :: v_dual_mov_b32 v19, v98
                                        ; implicit-def: $sgpr3
                                        ; implicit-def: $sgpr9
                                        ; implicit-def: $sgpr8
	s_delay_alu instid0(VALU_DEP_1) | instskip(NEXT) | instid1(VALU_DEP_1)
	v_lshlrev_b64_e32 v[68:69], 2, v[98:99]
	v_add_nc_u64_e32 v[84:85], v[34:35], v[68:69]
	v_add_nc_u64_e32 v[68:69], v[22:23], v[68:69]
	s_branch .LBB6_146
.LBB6_145:                              ;   in Loop: Header=BB6_146 Depth=3
	s_or_b32 exec_lo, exec_lo, s13
	s_xor_b32 s13, s8, -1
	s_and_b32 s14, exec_lo, s9
	v_add_nc_u64_e32 v[68:69], -4, v[68:69]
	s_or_b32 s4, s14, s4
	s_and_not1_b32 s3, s3, exec_lo
	s_and_b32 s13, s13, exec_lo
	s_delay_alu instid0(SALU_CYCLE_1)
	s_or_b32 s3, s3, s13
	s_and_not1_b32 exec_lo, exec_lo, s4
	s_cbranch_execz .LBB6_148
.LBB6_146:                              ;   Parent Loop BB6_6 Depth=1
                                        ;     Parent Loop BB6_140 Depth=2
                                        ; =>    This Inner Loop Header: Depth=3
	flat_load_b64 v[102:103], v[84:85]
	flat_load_b32 v7, v[68:69] offset:-4
	s_or_b32 s8, s8, exec_lo
	s_or_b32 s9, s9, exec_lo
	s_mov_b32 s13, exec_lo
	s_wait_loadcnt_dscnt 0x101
	v_mul_f32_e32 v24, v103, v102
	s_wait_loadcnt_dscnt 0x0
	v_mul_f32_e32 v66, v7, v7
	v_mov_b32_e32 v7, v19
                                        ; implicit-def: $vgpr19
	s_delay_alu instid0(VALU_DEP_3) | instskip(NEXT) | instid1(VALU_DEP_1)
	v_mul_f32_e64 v24, v72, |v24|
	v_cmpx_nle_f32_e64 |v66|, v24
	s_cbranch_execz .LBB6_145
; %bb.147:                              ;   in Loop: Header=BB6_146 Depth=3
	s_delay_alu instid0(VALU_DEP_3) | instskip(SKIP_3) | instid1(VALU_DEP_2)
	v_add_nc_u32_e32 v19, -1, v7
	v_add_nc_u64_e32 v[84:85], -4, v[84:85]
	s_and_not1_b32 s9, s9, exec_lo
	s_and_not1_b32 s8, s8, exec_lo
	v_cmp_le_i32_e32 vcc_lo, v19, v100
	s_and_b32 s14, vcc_lo, exec_lo
	s_delay_alu instid0(SALU_CYCLE_1)
	s_or_b32 s9, s9, s14
	s_branch .LBB6_145
.LBB6_148:                              ;   in Loop: Header=BB6_140 Depth=2
	s_or_b32 exec_lo, exec_lo, s4
	v_mov_b64_e32 v[84:85], v[98:99]
	v_mov_b64_e32 v[114:115], v[98:99]
	v_mov_b32_e32 v112, v100
	s_mov_b32 s4, -1
.LBB6_149:                              ;   in Loop: Header=BB6_140 Depth=2
	s_and_saveexec_b32 s8, s3
	s_cbranch_execnz .LBB6_178
; %bb.150:                              ;   in Loop: Header=BB6_140 Depth=2
	s_or_b32 exec_lo, exec_lo, s8
	s_and_saveexec_b32 s3, s4
	s_cbranch_execz .LBB6_152
.LBB6_151:                              ;   in Loop: Header=BB6_140 Depth=2
	v_mov_b64_e32 v[114:115], v[84:85]
	v_mov_b32_e32 v112, v7
	ds_store_2addr_b32 v25, v7, v98 offset0:1 offset1:4
	flat_store_b32 v[68:69], v25
.LBB6_152:                              ;   in Loop: Header=BB6_140 Depth=2
	s_wait_xcnt 0x0
	s_or_b32 exec_lo, exec_lo, s3
	v_lshl_add_u64 v[102:103], v[114:115], 2, v[4:5]
	s_mov_b32 s3, exec_lo
	flat_load_b32 v99, v[102:103]
	s_wait_loadcnt_dscnt 0x0
	ds_store_b32 v25, v99 offset:8
	s_wait_xcnt 0x0
	v_cmpx_ne_u32_e64 v112, v98
	s_xor_b32 s8, exec_lo, s3
	s_cbranch_execz .LBB6_206
; %bb.153:                              ;   in Loop: Header=BB6_140 Depth=2
	v_add_nc_u32_e32 v19, -1, v98
	s_mov_b32 s3, exec_lo
	s_delay_alu instid0(VALU_DEP_1)
	v_cmpx_ne_u32_e64 v112, v19
	s_xor_b32 s4, exec_lo, s3
	s_cbranch_execz .LBB6_182
; %bb.154:                              ;   in Loop: Header=BB6_140 Depth=2
	v_lshl_add_u64 v[114:115], v[114:115], 2, v[22:23]
	s_mov_b32 s9, exec_lo
	flat_load_b32 v19, v[102:103] offset:-4
	flat_load_b32 v24, v[114:115] offset:-4
	s_wait_loadcnt_dscnt 0x101
	v_dual_ashrrev_i32 v113, 31, v112 :: v_dual_sub_f32 v19, v19, v99
	s_delay_alu instid0(VALU_DEP_1)
	v_lshl_add_u64 v[118:119], v[112:113], 2, v[4:5]
	s_wait_loadcnt_dscnt 0x0
	v_add_f32_e32 v100, v24, v24
	flat_load_b32 v66, v[118:119]
	v_div_scale_f32 v116, null, v100, v100, v19
	v_div_scale_f32 v41, vcc_lo, v19, v100, v19
	s_delay_alu instid0(VALU_DEP_2) | instskip(SKIP_1) | instid1(TRANS32_DEP_1)
	v_rcp_f32_e32 v117, v116
	v_nop
	v_fma_f32 v40, -v116, v117, 1.0
	s_delay_alu instid0(VALU_DEP_1) | instskip(NEXT) | instid1(VALU_DEP_1)
	v_fmac_f32_e32 v117, v40, v117
	v_mul_f32_e32 v40, v41, v117
	s_delay_alu instid0(VALU_DEP_1) | instskip(NEXT) | instid1(VALU_DEP_1)
	v_fma_f32 v42, -v116, v40, v41
	v_fmac_f32_e32 v40, v42, v117
	s_delay_alu instid0(VALU_DEP_1) | instskip(NEXT) | instid1(VALU_DEP_1)
	v_fma_f32 v116, -v116, v40, v41
	v_div_fmas_f32 v116, v116, v117, v40
	s_delay_alu instid0(VALU_DEP_1) | instskip(NEXT) | instid1(VALU_DEP_1)
	v_div_fixup_f32 v19, v116, v100, v19
	v_fma_f32 v100, v19, v19, 1.0
	s_delay_alu instid0(VALU_DEP_1) | instskip(SKIP_1) | instid1(VALU_DEP_2)
	v_mul_f32_e32 v116, 0x4f800000, v100
	v_cmp_gt_f32_e32 vcc_lo, 0xf800000, v100
	v_cndmask_b32_e32 v100, v100, v116, vcc_lo
	s_delay_alu instid0(VALU_DEP_1) | instskip(SKIP_1) | instid1(TRANS32_DEP_1)
	v_sqrt_f32_e32 v116, v100
	v_nop
	v_dual_add_nc_u32 v117, -1, v116 :: v_dual_add_nc_u32 v40, 1, v116
	s_delay_alu instid0(VALU_DEP_1) | instskip(NEXT) | instid1(VALU_DEP_1)
	v_dual_fma_f32 v41, -v117, v116, v100 :: v_dual_fma_f32 v42, -v40, v116, v100
	v_cmp_ge_f32_e64 s3, 0, v41
	s_delay_alu instid0(VALU_DEP_1) | instskip(NEXT) | instid1(VALU_DEP_3)
	v_cndmask_b32_e64 v116, v116, v117, s3
	v_cmp_lt_f32_e64 s3, 0, v42
	s_wait_loadcnt_dscnt 0x0
	s_delay_alu instid0(VALU_DEP_1) | instskip(NEXT) | instid1(VALU_DEP_1)
	v_dual_cndmask_b32 v116, v116, v40, s3 :: v_dual_sub_f32 v66, v66, v99
	v_mul_f32_e32 v117, 0x37800000, v116
	v_add_nc_u32_e32 v99, 1, v101
	s_delay_alu instid0(VALU_DEP_2) | instskip(SKIP_4) | instid1(VALU_DEP_2)
	v_cndmask_b32_e32 v116, v116, v117, vcc_lo
	v_cmp_class_f32_e64 vcc_lo, v100, 0x260
	ds_store_2addr_b32 v25, v25, v99 offset0:2 offset1:7
	v_cndmask_b32_e32 v100, v116, v100, vcc_lo
	v_cmp_nle_f32_e32 vcc_lo, 0, v19
	v_cndmask_b32_e64 v100, |v100|, -|v100|, vcc_lo
	s_delay_alu instid0(VALU_DEP_1) | instskip(NEXT) | instid1(VALU_DEP_1)
	v_add_f32_e32 v19, v19, v100
	v_div_scale_f32 v100, null, v19, v19, v24
	v_div_scale_f32 v40, vcc_lo, v24, v19, v24
	s_delay_alu instid0(VALU_DEP_2) | instskip(SKIP_1) | instid1(TRANS32_DEP_1)
	v_rcp_f32_e32 v116, v100
	v_nop
	v_fma_f32 v117, -v100, v116, 1.0
	s_delay_alu instid0(VALU_DEP_1) | instskip(NEXT) | instid1(VALU_DEP_1)
	v_fmac_f32_e32 v116, v117, v116
	v_mul_f32_e32 v117, v40, v116
	s_delay_alu instid0(VALU_DEP_1) | instskip(NEXT) | instid1(VALU_DEP_1)
	v_fma_f32 v41, -v100, v117, v40
	v_fmac_f32_e32 v117, v41, v116
	s_delay_alu instid0(VALU_DEP_1) | instskip(NEXT) | instid1(VALU_DEP_1)
	v_fma_f32 v100, -v100, v117, v40
	v_div_fmas_f32 v100, v100, v116, v117
	s_delay_alu instid0(VALU_DEP_1) | instskip(NEXT) | instid1(VALU_DEP_1)
	v_div_fixup_f32 v24, v100, v19, v24
	v_dual_mov_b32 v19, 0 :: v_dual_add_f32 v117, v66, v24
	s_wait_xcnt 0x0
	v_cmpx_lt_i32_e64 v112, v98
	s_cbranch_execz .LBB6_181
; %bb.155:                              ;   in Loop: Header=BB6_140 Depth=2
	v_lshl_add_u64 v[100:101], v[112:113], 2, v[22:23]
	s_mov_b32 s13, exec_lo
	flat_load_b32 v19, v[100:101]
	s_wait_xcnt 0x0
	v_dual_mov_b32 v100, 0 :: v_dual_mov_b32 v101, 1.0
	s_wait_loadcnt_dscnt 0x0
	v_cmpx_neq_f32_e32 0, v19
	s_cbranch_execz .LBB6_163
; %bb.156:                              ;   in Loop: Header=BB6_140 Depth=2
	v_dual_mov_b32 v101, 0 :: v_dual_mov_b32 v100, 1.0
	s_mov_b32 s14, exec_lo
	v_cmpx_neq_f32_e32 0, v117
	s_cbranch_execz .LBB6_162
; %bb.157:                              ;   in Loop: Header=BB6_140 Depth=2
	s_mov_b32 s15, exec_lo
                                        ; implicit-def: $vgpr101
	v_cmpx_ngt_f32_e64 |v19|, |v117|
	s_xor_b32 s15, exec_lo, s15
	s_cbranch_execz .LBB6_159
; %bb.158:                              ;   in Loop: Header=BB6_140 Depth=2
	v_div_scale_f32 v24, null, v117, v117, -v19
	v_div_scale_f32 v100, vcc_lo, -v19, v117, -v19
	s_delay_alu instid0(VALU_DEP_2) | instskip(SKIP_1) | instid1(TRANS32_DEP_1)
	v_rcp_f32_e32 v66, v24
	v_nop
	v_fma_f32 v99, -v24, v66, 1.0
	s_delay_alu instid0(VALU_DEP_1) | instskip(NEXT) | instid1(VALU_DEP_1)
	v_fmac_f32_e32 v66, v99, v66
	v_mul_f32_e32 v99, v100, v66
	s_delay_alu instid0(VALU_DEP_1) | instskip(NEXT) | instid1(VALU_DEP_1)
	v_fma_f32 v101, -v24, v99, v100
	v_fmac_f32_e32 v99, v101, v66
	s_delay_alu instid0(VALU_DEP_1) | instskip(NEXT) | instid1(VALU_DEP_1)
	v_fma_f32 v24, -v24, v99, v100
	v_div_fmas_f32 v24, v24, v66, v99
	s_delay_alu instid0(VALU_DEP_1) | instskip(NEXT) | instid1(VALU_DEP_1)
	v_div_fixup_f32 v24, v24, v117, -v19
	v_fma_f32 v66, v24, v24, 1.0
	s_delay_alu instid0(VALU_DEP_1) | instskip(SKIP_1) | instid1(VALU_DEP_2)
	v_mul_f32_e32 v99, 0x4f800000, v66
	v_cmp_gt_f32_e32 vcc_lo, 0xf800000, v66
	v_cndmask_b32_e32 v66, v66, v99, vcc_lo
	s_delay_alu instid0(VALU_DEP_1) | instskip(SKIP_1) | instid1(TRANS32_DEP_1)
	v_sqrt_f32_e32 v99, v66
	v_nop
	v_dual_add_nc_u32 v100, -1, v99 :: v_dual_add_nc_u32 v101, 1, v99
	s_delay_alu instid0(VALU_DEP_1) | instskip(NEXT) | instid1(VALU_DEP_1)
	v_dual_fma_f32 v116, -v100, v99, v66 :: v_dual_fma_f32 v117, -v101, v99, v66
	v_cmp_ge_f32_e64 s3, 0, v116
	s_delay_alu instid0(VALU_DEP_1) | instskip(NEXT) | instid1(VALU_DEP_3)
	v_cndmask_b32_e64 v99, v99, v100, s3
	v_cmp_lt_f32_e64 s3, 0, v117
	s_delay_alu instid0(VALU_DEP_1) | instskip(NEXT) | instid1(VALU_DEP_1)
	v_cndmask_b32_e64 v99, v99, v101, s3
	v_mul_f32_e32 v100, 0x37800000, v99
	s_delay_alu instid0(VALU_DEP_1) | instskip(SKIP_1) | instid1(VALU_DEP_2)
	v_cndmask_b32_e32 v99, v99, v100, vcc_lo
	v_cmp_class_f32_e64 vcc_lo, v66, 0x260
	v_cndmask_b32_e32 v66, v99, v66, vcc_lo
	s_delay_alu instid0(VALU_DEP_1) | instskip(NEXT) | instid1(VALU_DEP_1)
	v_div_scale_f32 v99, null, v66, v66, 1.0
	v_rcp_f32_e32 v100, v99
	v_nop
	s_delay_alu instid0(TRANS32_DEP_1) | instskip(NEXT) | instid1(VALU_DEP_1)
	v_fma_f32 v101, -v99, v100, 1.0
	v_fmac_f32_e32 v100, v101, v100
	v_div_scale_f32 v101, vcc_lo, 1.0, v66, 1.0
	s_delay_alu instid0(VALU_DEP_1) | instskip(NEXT) | instid1(VALU_DEP_1)
	v_mul_f32_e32 v116, v101, v100
	v_fma_f32 v117, -v99, v116, v101
	s_delay_alu instid0(VALU_DEP_1) | instskip(NEXT) | instid1(VALU_DEP_1)
	v_fmac_f32_e32 v116, v117, v100
                                        ; implicit-def: $vgpr117
	v_fma_f32 v99, -v99, v116, v101
	s_delay_alu instid0(VALU_DEP_1) | instskip(NEXT) | instid1(VALU_DEP_1)
	v_div_fmas_f32 v99, v99, v100, v116
	v_div_fixup_f32 v101, v99, v66, 1.0
	s_delay_alu instid0(VALU_DEP_1)
	v_mul_f32_e32 v100, v24, v101
.LBB6_159:                              ;   in Loop: Header=BB6_140 Depth=2
	s_and_not1_saveexec_b32 s15, s15
	s_cbranch_execz .LBB6_161
; %bb.160:                              ;   in Loop: Header=BB6_140 Depth=2
	v_div_scale_f32 v24, null, v19, v19, -v117
	v_div_scale_f32 v100, vcc_lo, -v117, v19, -v117
	s_delay_alu instid0(VALU_DEP_2) | instskip(SKIP_1) | instid1(TRANS32_DEP_1)
	v_rcp_f32_e32 v66, v24
	v_nop
	v_fma_f32 v99, -v24, v66, 1.0
	s_delay_alu instid0(VALU_DEP_1) | instskip(NEXT) | instid1(VALU_DEP_1)
	v_fmac_f32_e32 v66, v99, v66
	v_mul_f32_e32 v99, v100, v66
	s_delay_alu instid0(VALU_DEP_1) | instskip(NEXT) | instid1(VALU_DEP_1)
	v_fma_f32 v101, -v24, v99, v100
	v_fmac_f32_e32 v99, v101, v66
	s_delay_alu instid0(VALU_DEP_1) | instskip(NEXT) | instid1(VALU_DEP_1)
	v_fma_f32 v24, -v24, v99, v100
	v_div_fmas_f32 v24, v24, v66, v99
	s_delay_alu instid0(VALU_DEP_1) | instskip(NEXT) | instid1(VALU_DEP_1)
	v_div_fixup_f32 v24, v24, v19, -v117
	v_fma_f32 v66, v24, v24, 1.0
	s_delay_alu instid0(VALU_DEP_1) | instskip(SKIP_1) | instid1(VALU_DEP_2)
	v_mul_f32_e32 v99, 0x4f800000, v66
	v_cmp_gt_f32_e32 vcc_lo, 0xf800000, v66
	v_cndmask_b32_e32 v66, v66, v99, vcc_lo
	s_delay_alu instid0(VALU_DEP_1) | instskip(SKIP_1) | instid1(TRANS32_DEP_1)
	v_sqrt_f32_e32 v99, v66
	v_nop
	v_dual_add_nc_u32 v100, -1, v99 :: v_dual_add_nc_u32 v101, 1, v99
	s_delay_alu instid0(VALU_DEP_1) | instskip(NEXT) | instid1(VALU_DEP_1)
	v_dual_fma_f32 v116, -v100, v99, v66 :: v_dual_fma_f32 v117, -v101, v99, v66
	v_cmp_ge_f32_e64 s3, 0, v116
	s_delay_alu instid0(VALU_DEP_1) | instskip(NEXT) | instid1(VALU_DEP_3)
	v_cndmask_b32_e64 v99, v99, v100, s3
	v_cmp_lt_f32_e64 s3, 0, v117
	s_delay_alu instid0(VALU_DEP_1) | instskip(NEXT) | instid1(VALU_DEP_1)
	v_cndmask_b32_e64 v99, v99, v101, s3
	v_mul_f32_e32 v100, 0x37800000, v99
	s_delay_alu instid0(VALU_DEP_1) | instskip(SKIP_1) | instid1(VALU_DEP_2)
	v_cndmask_b32_e32 v99, v99, v100, vcc_lo
	v_cmp_class_f32_e64 vcc_lo, v66, 0x260
	v_cndmask_b32_e32 v66, v99, v66, vcc_lo
	s_delay_alu instid0(VALU_DEP_1) | instskip(NEXT) | instid1(VALU_DEP_1)
	v_div_scale_f32 v99, null, v66, v66, 1.0
	v_rcp_f32_e32 v100, v99
	v_nop
	s_delay_alu instid0(TRANS32_DEP_1) | instskip(NEXT) | instid1(VALU_DEP_1)
	v_fma_f32 v101, -v99, v100, 1.0
	v_fmac_f32_e32 v100, v101, v100
	v_div_scale_f32 v101, vcc_lo, 1.0, v66, 1.0
	s_delay_alu instid0(VALU_DEP_1) | instskip(NEXT) | instid1(VALU_DEP_1)
	v_mul_f32_e32 v116, v101, v100
	v_fma_f32 v117, -v99, v116, v101
	s_delay_alu instid0(VALU_DEP_1) | instskip(NEXT) | instid1(VALU_DEP_1)
	v_fmac_f32_e32 v116, v117, v100
	v_fma_f32 v99, -v99, v116, v101
	s_delay_alu instid0(VALU_DEP_1) | instskip(NEXT) | instid1(VALU_DEP_1)
	v_div_fmas_f32 v99, v99, v100, v116
	v_div_fixup_f32 v100, v99, v66, 1.0
	s_delay_alu instid0(VALU_DEP_1)
	v_mul_f32_e32 v101, v24, v100
.LBB6_161:                              ;   in Loop: Header=BB6_140 Depth=2
	s_or_b32 exec_lo, exec_lo, s15
.LBB6_162:                              ;   in Loop: Header=BB6_140 Depth=2
	s_delay_alu instid0(SALU_CYCLE_1)
	s_or_b32 exec_lo, exec_lo, s14
.LBB6_163:                              ;   in Loop: Header=BB6_140 Depth=2
	s_delay_alu instid0(SALU_CYCLE_1) | instskip(SKIP_4) | instid1(VALU_DEP_2)
	s_or_b32 exec_lo, exec_lo, s13
	flat_load_b64 v[116:117], v[118:119]
	v_lshl_add_u64 v[42:43], v[112:113], 2, v[12:13]
	v_xor_b32_e32 v24, 0x80000000, v100
	s_mov_b32 s13, exec_lo
	v_lshl_add_u64 v[44:45], v[2:3], 2, v[42:43]
	s_wait_loadcnt_dscnt 0x0
	v_sub_f32_e32 v66, v117, v116
	s_delay_alu instid0(VALU_DEP_1) | instskip(NEXT) | instid1(VALU_DEP_1)
	v_pk_mul_f32 v[40:41], v[100:101], v[66:67]
	v_dual_fma_f32 v66, v19, v41, -v40 :: v_dual_add_nc_u32 v40, 1, v112
	s_delay_alu instid0(VALU_DEP_1)
	v_dual_mul_f32 v99, v66, -v100 :: v_dual_fma_f32 v100, v66, -v100, v116
	v_fma_f32 v117, v101, v66, -v19
	ds_store_b32 v25, v99 offset:8
	flat_store_b32 v[118:119], v100
	s_clause 0x1
	flat_store_b32 v[42:43], v101
	flat_store_b32 v[44:45], v24 offset:-4
	s_wait_xcnt 0x0
	v_cmpx_lt_i32_e64 v40, v98
	s_cbranch_execz .LBB6_180
; %bb.164:                              ;   in Loop: Header=BB6_140 Depth=2
	v_ashrrev_i32_e32 v41, 31, v40
	s_mov_b32 s15, 1
	s_mov_b32 s14, 0
	s_delay_alu instid0(VALU_DEP_1) | instskip(NEXT) | instid1(VALU_DEP_1)
	v_lshlrev_b64_e32 v[42:43], 2, v[40:41]
	v_add_nc_u64_e32 v[118:119], v[12:13], v[42:43]
	v_add_nc_u64_e32 v[40:41], v[26:27], v[42:43]
	;; [unrolled: 1-line block ×3, first 2 shown]
	s_branch .LBB6_166
.LBB6_165:                              ;   in Loop: Header=BB6_166 Depth=3
	flat_load_b64 v[116:117], v[40:41] offset:-4
	ds_load_b32 v24, v25 offset:8
	s_add_co_i32 s15, s15, 1
	v_add_nc_u64_e32 v[42:43], 4, v[42:43]
	v_add_nc_u64_e32 v[46:47], v[118:119], v[32:33]
	v_dual_mul_f32 v19, v101, v19 :: v_dual_add_nc_u32 v99, s15, v112
	s_delay_alu instid0(VALU_DEP_1) | instskip(SKIP_3) | instid1(VALU_DEP_1)
	v_cmp_ge_i32_e32 vcc_lo, v99, v98
	s_or_b32 s14, vcc_lo, s14
	s_wait_loadcnt_dscnt 0x0
	v_sub_f32_e32 v24, v116, v24
	v_sub_f32_e32 v66, v117, v24
	s_delay_alu instid0(VALU_DEP_1) | instskip(NEXT) | instid1(VALU_DEP_1)
	v_pk_mul_f32 v[100:101], v[44:45], v[66:67]
	v_fma_f32 v66, v19, v101, -v100
	s_delay_alu instid0(VALU_DEP_1)
	v_dual_mul_f32 v100, v66, -v44 :: v_dual_fma_f32 v101, v66, -v44, v24
	v_xor_b32_e32 v24, 0x80000000, v44
	v_fma_f32 v117, v45, v66, -v19
	ds_store_b32 v25, v100 offset:8
	flat_store_b32 v[40:41], v101 offset:-4
	flat_store_b32 v[118:119], v45
	s_wait_xcnt 0x0
	v_add_nc_u64_e32 v[118:119], 4, v[118:119]
	v_add_nc_u64_e32 v[40:41], 4, v[40:41]
	v_mov_b32_e32 v101, v45
	flat_store_b32 v[46:47], v24
	s_wait_xcnt 0x0
	s_and_not1_b32 exec_lo, exec_lo, s14
	s_cbranch_execz .LBB6_179
.LBB6_166:                              ;   Parent Loop BB6_6 Depth=1
                                        ;     Parent Loop BB6_140 Depth=2
                                        ; =>    This Inner Loop Header: Depth=3
	flat_load_b32 v19, v[42:43] offset:4
	v_mov_b32_e32 v45, 1.0
	s_mov_b32 s16, exec_lo
	s_wait_loadcnt_dscnt 0x0
	v_dual_mov_b32 v44, 0 :: v_dual_mul_f32 v116, v24, v19
	s_wait_xcnt 0x0
	s_delay_alu instid0(VALU_DEP_1)
	v_cmpx_neq_f32_e32 0, v116
	s_cbranch_execz .LBB6_176
; %bb.167:                              ;   in Loop: Header=BB6_166 Depth=3
	v_xor_b32_e32 v24, 0x80000000, v116
                                        ; implicit-def: $vgpr45
	s_mov_b32 s3, exec_lo
	v_cmpx_neq_f32_e32 0, v117
	s_xor_b32 s17, exec_lo, s3
	s_cbranch_execz .LBB6_173
; %bb.168:                              ;   in Loop: Header=BB6_166 Depth=3
	s_mov_b32 s18, exec_lo
                                        ; implicit-def: $vgpr45
	v_cmpx_ngt_f32_e64 |v116|, |v117|
	s_xor_b32 s18, exec_lo, s18
	s_cbranch_execz .LBB6_170
; %bb.169:                              ;   in Loop: Header=BB6_166 Depth=3
	v_div_scale_f32 v24, null, v117, v117, -v116
	v_div_scale_f32 v100, vcc_lo, -v116, v117, -v116
	s_delay_alu instid0(VALU_DEP_2) | instskip(SKIP_1) | instid1(TRANS32_DEP_1)
	v_rcp_f32_e32 v66, v24
	v_nop
	v_fma_f32 v99, -v24, v66, 1.0
	s_delay_alu instid0(VALU_DEP_1) | instskip(NEXT) | instid1(VALU_DEP_1)
	v_fmac_f32_e32 v66, v99, v66
	v_mul_f32_e32 v99, v100, v66
	s_delay_alu instid0(VALU_DEP_1) | instskip(NEXT) | instid1(VALU_DEP_1)
	v_fma_f32 v113, -v24, v99, v100
	v_fmac_f32_e32 v99, v113, v66
	s_delay_alu instid0(VALU_DEP_1) | instskip(NEXT) | instid1(VALU_DEP_1)
	v_fma_f32 v24, -v24, v99, v100
	v_div_fmas_f32 v24, v24, v66, v99
	s_delay_alu instid0(VALU_DEP_1) | instskip(NEXT) | instid1(VALU_DEP_1)
	v_div_fixup_f32 v24, v24, v117, -v116
	v_fma_f32 v66, v24, v24, 1.0
	s_delay_alu instid0(VALU_DEP_1) | instskip(SKIP_1) | instid1(VALU_DEP_2)
	v_mul_f32_e32 v99, 0x4f800000, v66
	v_cmp_gt_f32_e32 vcc_lo, 0xf800000, v66
	v_cndmask_b32_e32 v66, v66, v99, vcc_lo
	s_delay_alu instid0(VALU_DEP_1) | instskip(SKIP_1) | instid1(TRANS32_DEP_1)
	v_sqrt_f32_e32 v99, v66
	v_nop
	v_dual_add_nc_u32 v100, -1, v99 :: v_dual_add_nc_u32 v113, 1, v99
	s_delay_alu instid0(VALU_DEP_1) | instskip(NEXT) | instid1(VALU_DEP_1)
	v_dual_fma_f32 v44, -v100, v99, v66 :: v_dual_fma_f32 v45, -v113, v99, v66
	v_cmp_ge_f32_e64 s3, 0, v44
	s_delay_alu instid0(VALU_DEP_1) | instskip(NEXT) | instid1(VALU_DEP_3)
	v_cndmask_b32_e64 v99, v99, v100, s3
	v_cmp_lt_f32_e64 s3, 0, v45
	s_delay_alu instid0(VALU_DEP_1) | instskip(NEXT) | instid1(VALU_DEP_1)
	v_cndmask_b32_e64 v99, v99, v113, s3
	v_mul_f32_e32 v100, 0x37800000, v99
	s_delay_alu instid0(VALU_DEP_1) | instskip(SKIP_1) | instid1(VALU_DEP_2)
	v_cndmask_b32_e32 v99, v99, v100, vcc_lo
	v_cmp_class_f32_e64 vcc_lo, v66, 0x260
	v_cndmask_b32_e32 v66, v99, v66, vcc_lo
	s_delay_alu instid0(VALU_DEP_1) | instskip(NEXT) | instid1(VALU_DEP_1)
	v_div_scale_f32 v99, null, v66, v66, 1.0
	v_rcp_f32_e32 v100, v99
	v_nop
	s_delay_alu instid0(TRANS32_DEP_1) | instskip(NEXT) | instid1(VALU_DEP_1)
	v_fma_f32 v113, -v99, v100, 1.0
	v_fmac_f32_e32 v100, v113, v100
	v_div_scale_f32 v113, vcc_lo, 1.0, v66, 1.0
	s_delay_alu instid0(VALU_DEP_1) | instskip(NEXT) | instid1(VALU_DEP_1)
	v_mul_f32_e32 v44, v113, v100
	v_fma_f32 v45, -v99, v44, v113
	s_delay_alu instid0(VALU_DEP_1) | instskip(NEXT) | instid1(VALU_DEP_1)
	v_fmac_f32_e32 v44, v45, v100
	v_fma_f32 v99, -v99, v44, v113
	s_delay_alu instid0(VALU_DEP_1) | instskip(NEXT) | instid1(VALU_DEP_1)
	v_div_fmas_f32 v99, v99, v100, v44
	v_div_fixup_f32 v45, v99, v66, 1.0
	s_delay_alu instid0(VALU_DEP_1)
	v_mul_f32_e32 v44, v24, v45
.LBB6_170:                              ;   in Loop: Header=BB6_166 Depth=3
	s_and_not1_saveexec_b32 s18, s18
	s_cbranch_execz .LBB6_172
; %bb.171:                              ;   in Loop: Header=BB6_166 Depth=3
	v_div_scale_f32 v24, null, v116, v116, -v117
	v_div_scale_f32 v100, vcc_lo, -v117, v116, -v117
	s_delay_alu instid0(VALU_DEP_2) | instskip(SKIP_1) | instid1(TRANS32_DEP_1)
	v_rcp_f32_e32 v66, v24
	v_nop
	v_fma_f32 v99, -v24, v66, 1.0
	s_delay_alu instid0(VALU_DEP_1) | instskip(NEXT) | instid1(VALU_DEP_1)
	v_fmac_f32_e32 v66, v99, v66
	v_mul_f32_e32 v99, v100, v66
	s_delay_alu instid0(VALU_DEP_1) | instskip(NEXT) | instid1(VALU_DEP_1)
	v_fma_f32 v113, -v24, v99, v100
	v_fmac_f32_e32 v99, v113, v66
	s_delay_alu instid0(VALU_DEP_1) | instskip(NEXT) | instid1(VALU_DEP_1)
	v_fma_f32 v24, -v24, v99, v100
	v_div_fmas_f32 v24, v24, v66, v99
	s_delay_alu instid0(VALU_DEP_1) | instskip(NEXT) | instid1(VALU_DEP_1)
	v_div_fixup_f32 v24, v24, v116, -v117
	v_fma_f32 v66, v24, v24, 1.0
	s_delay_alu instid0(VALU_DEP_1) | instskip(SKIP_1) | instid1(VALU_DEP_2)
	v_mul_f32_e32 v99, 0x4f800000, v66
	v_cmp_gt_f32_e32 vcc_lo, 0xf800000, v66
	v_cndmask_b32_e32 v66, v66, v99, vcc_lo
	s_delay_alu instid0(VALU_DEP_1) | instskip(SKIP_1) | instid1(TRANS32_DEP_1)
	v_sqrt_f32_e32 v99, v66
	v_nop
	v_dual_add_nc_u32 v100, -1, v99 :: v_dual_add_nc_u32 v113, 1, v99
	s_delay_alu instid0(VALU_DEP_1) | instskip(NEXT) | instid1(VALU_DEP_1)
	v_dual_fma_f32 v44, -v100, v99, v66 :: v_dual_fma_f32 v45, -v113, v99, v66
	v_cmp_ge_f32_e64 s3, 0, v44
	s_delay_alu instid0(VALU_DEP_1) | instskip(NEXT) | instid1(VALU_DEP_3)
	v_cndmask_b32_e64 v99, v99, v100, s3
	v_cmp_lt_f32_e64 s3, 0, v45
	s_delay_alu instid0(VALU_DEP_1) | instskip(NEXT) | instid1(VALU_DEP_1)
	v_cndmask_b32_e64 v99, v99, v113, s3
	v_mul_f32_e32 v100, 0x37800000, v99
	s_delay_alu instid0(VALU_DEP_1) | instskip(SKIP_1) | instid1(VALU_DEP_2)
	v_cndmask_b32_e32 v99, v99, v100, vcc_lo
	v_cmp_class_f32_e64 vcc_lo, v66, 0x260
	v_cndmask_b32_e32 v66, v99, v66, vcc_lo
	s_delay_alu instid0(VALU_DEP_1) | instskip(NEXT) | instid1(VALU_DEP_1)
	v_div_scale_f32 v99, null, v66, v66, 1.0
	v_rcp_f32_e32 v100, v99
	v_nop
	s_delay_alu instid0(TRANS32_DEP_1) | instskip(NEXT) | instid1(VALU_DEP_1)
	v_fma_f32 v113, -v99, v100, 1.0
	v_fmac_f32_e32 v100, v113, v100
	v_div_scale_f32 v113, vcc_lo, 1.0, v66, 1.0
	s_delay_alu instid0(VALU_DEP_1) | instskip(NEXT) | instid1(VALU_DEP_1)
	v_mul_f32_e32 v44, v113, v100
	v_fma_f32 v45, -v99, v44, v113
	s_delay_alu instid0(VALU_DEP_1) | instskip(NEXT) | instid1(VALU_DEP_1)
	v_fmac_f32_e32 v44, v45, v100
	v_fma_f32 v99, -v99, v44, v113
	s_delay_alu instid0(VALU_DEP_1) | instskip(NEXT) | instid1(VALU_DEP_1)
	v_div_fmas_f32 v99, v99, v100, v44
	v_div_fixup_f32 v44, v99, v66, 1.0
	s_delay_alu instid0(VALU_DEP_1)
	v_mul_f32_e32 v45, v24, v44
.LBB6_172:                              ;   in Loop: Header=BB6_166 Depth=3
	s_or_b32 exec_lo, exec_lo, s18
	s_delay_alu instid0(VALU_DEP_1) | instskip(NEXT) | instid1(VALU_DEP_1)
	v_pk_mul_f32 v[116:117], v[116:117], v[44:45]
	v_sub_f32_e32 v24, v117, v116
.LBB6_173:                              ;   in Loop: Header=BB6_166 Depth=3
	s_and_not1_saveexec_b32 s3, s17
; %bb.174:                              ;   in Loop: Header=BB6_166 Depth=3
	v_dual_mov_b32 v44, 1.0 :: v_dual_mov_b32 v45, 0
; %bb.175:                              ;   in Loop: Header=BB6_166 Depth=3
	s_or_b32 exec_lo, exec_lo, s3
	s_delay_alu instid0(VALU_DEP_2)
	v_mov_b32_e32 v117, v24
.LBB6_176:                              ;   in Loop: Header=BB6_166 Depth=3
	s_or_b32 exec_lo, exec_lo, s16
	s_cmp_eq_u32 s15, 0
	s_cbranch_scc1 .LBB6_165
; %bb.177:                              ;   in Loop: Header=BB6_166 Depth=3
	flat_store_b32 v[42:43], v117
	s_branch .LBB6_165
.LBB6_178:                              ;   in Loop: Header=BB6_140 Depth=2
	s_and_not1_b32 s4, s4, exec_lo
	ds_store_2addr_b32 v25, v112, v98 offset0:1 offset1:4
	s_or_b32 exec_lo, exec_lo, s8
	s_and_saveexec_b32 s3, s4
	s_cbranch_execnz .LBB6_151
	s_branch .LBB6_152
.LBB6_179:                              ;   in Loop: Header=BB6_140 Depth=2
	s_or_b32 exec_lo, exec_lo, s14
.LBB6_180:                              ;   in Loop: Header=BB6_140 Depth=2
	s_delay_alu instid0(SALU_CYCLE_1)
	s_or_b32 exec_lo, exec_lo, s13
	ds_load_b32 v19, v25 offset:8
.LBB6_181:                              ;   in Loop: Header=BB6_140 Depth=2
	s_or_b32 exec_lo, exec_lo, s9
	flat_load_b32 v24, v[102:103]
                                        ; implicit-def: $vgpr98
                                        ; implicit-def: $vgpr99
                                        ; implicit-def: $vgpr112
	s_wait_loadcnt_dscnt 0x0
	v_sub_f32_e32 v19, v24, v19
	flat_store_b32 v[102:103], v19
	flat_store_b32 v[114:115], v117 offset:-4
                                        ; implicit-def: $vgpr102_vgpr103
                                        ; implicit-def: $vgpr114_vgpr115
.LBB6_182:                              ;   in Loop: Header=BB6_140 Depth=2
	s_wait_xcnt 0x0
	s_and_not1_saveexec_b32 s9, s4
	s_cbranch_execz .LBB6_216
; %bb.183:                              ;   in Loop: Header=BB6_140 Depth=2
	v_ashrrev_i32_e32 v113, 31, v112
	s_mov_b32 s4, exec_lo
                                        ; implicit-def: $vgpr24
	s_delay_alu instid0(VALU_DEP_1) | instskip(NEXT) | instid1(VALU_DEP_1)
	v_lshlrev_b64_e32 v[100:101], 2, v[112:113]
	v_add_nc_u64_e32 v[112:113], v[22:23], v[100:101]
	v_add_nc_u64_e32 v[118:119], v[4:5], v[100:101]
	flat_load_b32 v116, v[112:113]
	flat_load_b32 v112, v[118:119]
	s_wait_loadcnt_dscnt 0x101
	v_add_f32_e32 v19, v116, v116
	s_wait_loadcnt_dscnt 0x0
	v_sub_f32_e32 v66, v112, v99
	s_delay_alu instid0(VALU_DEP_2) | instskip(SKIP_1) | instid1(VALU_DEP_2)
	v_and_b32_e32 v113, 0x7fffffff, v19
	s_wait_xcnt 0x0
	v_cmpx_ngt_f32_e64 |v66|, |v19|
	s_xor_b32 s4, exec_lo, s4
	s_cbranch_execz .LBB6_189
; %bb.184:                              ;   in Loop: Header=BB6_140 Depth=2
	v_cmp_nlt_f32_e64 s3, |v66|, |v19|
                                        ; implicit-def: $vgpr24
	s_and_saveexec_b32 s13, s3
	s_delay_alu instid0(SALU_CYCLE_1)
	s_xor_b32 s3, exec_lo, s13
	s_cbranch_execz .LBB6_186
; %bb.185:                              ;   in Loop: Header=BB6_140 Depth=2
	v_cvt_f64_f32_e32 v[118:119], v113
                                        ; implicit-def: $vgpr113
	s_delay_alu instid0(VALU_DEP_1) | instskip(NEXT) | instid1(VALU_DEP_1)
	v_mul_f64_e32 v[118:119], 0x3ff6a09e667f3bcd, v[118:119]
	v_cvt_f32_f64_e32 v24, v[118:119]
.LBB6_186:                              ;   in Loop: Header=BB6_140 Depth=2
	s_and_not1_saveexec_b32 s13, s3
	s_cbranch_execz .LBB6_188
; %bb.187:                              ;   in Loop: Header=BB6_140 Depth=2
	v_and_b32_e32 v24, 0x7fffffff, v66
	s_delay_alu instid0(VALU_DEP_1) | instskip(SKIP_1) | instid1(VALU_DEP_2)
	v_div_scale_f32 v117, null, v113, v113, v24
	v_div_scale_f32 v24, vcc_lo, v24, v113, v24
	v_rcp_f32_e32 v118, v117
	v_nop
	s_delay_alu instid0(TRANS32_DEP_1) | instskip(NEXT) | instid1(VALU_DEP_1)
	v_fma_f32 v119, -v117, v118, 1.0
	v_fmac_f32_e32 v118, v119, v118
	s_delay_alu instid0(VALU_DEP_1) | instskip(NEXT) | instid1(VALU_DEP_1)
	v_mul_f32_e32 v113, v24, v118
	v_fma_f32 v119, -v117, v113, v24
	s_delay_alu instid0(VALU_DEP_1) | instskip(NEXT) | instid1(VALU_DEP_1)
	v_fmac_f32_e32 v113, v119, v118
	v_fma_f32 v24, -v117, v113, v24
	s_delay_alu instid0(VALU_DEP_1) | instskip(NEXT) | instid1(VALU_DEP_1)
	v_div_fmas_f32 v24, v24, v118, v113
	v_div_fixup_f32 v24, v24, |v19|, |v66|
	s_delay_alu instid0(VALU_DEP_1) | instskip(NEXT) | instid1(VALU_DEP_1)
	v_fma_f32 v24, v24, v24, 1.0
	v_mul_f32_e32 v113, 0x4f800000, v24
	v_cmp_gt_f32_e32 vcc_lo, 0xf800000, v24
	s_delay_alu instid0(VALU_DEP_2) | instskip(NEXT) | instid1(VALU_DEP_1)
	v_cndmask_b32_e32 v24, v24, v113, vcc_lo
	v_sqrt_f32_e32 v113, v24
	v_nop
	s_delay_alu instid0(TRANS32_DEP_1) | instskip(NEXT) | instid1(VALU_DEP_1)
	v_dual_add_nc_u32 v117, -1, v113 :: v_dual_add_nc_u32 v118, 1, v113
	v_dual_fma_f32 v119, -v117, v113, v24 :: v_dual_fma_f32 v40, -v118, v113, v24
	s_delay_alu instid0(VALU_DEP_1) | instskip(NEXT) | instid1(VALU_DEP_1)
	v_cmp_ge_f32_e64 s3, 0, v119
	v_cndmask_b32_e64 v113, v113, v117, s3
	s_delay_alu instid0(VALU_DEP_3) | instskip(NEXT) | instid1(VALU_DEP_1)
	v_cmp_lt_f32_e64 s3, 0, v40
	v_cndmask_b32_e64 v113, v113, v118, s3
	s_delay_alu instid0(VALU_DEP_1) | instskip(NEXT) | instid1(VALU_DEP_1)
	v_mul_f32_e32 v117, 0x37800000, v113
	v_cndmask_b32_e32 v113, v113, v117, vcc_lo
	v_cmp_class_f32_e64 vcc_lo, v24, 0x260
	s_delay_alu instid0(VALU_DEP_2) | instskip(NEXT) | instid1(VALU_DEP_1)
	v_cndmask_b32_e32 v24, v113, v24, vcc_lo
	v_mul_f32_e64 v24, |v19|, v24
.LBB6_188:                              ;   in Loop: Header=BB6_140 Depth=2
	s_or_b32 exec_lo, exec_lo, s13
                                        ; implicit-def: $vgpr113
.LBB6_189:                              ;   in Loop: Header=BB6_140 Depth=2
	s_and_not1_saveexec_b32 s4, s4
	s_cbranch_execz .LBB6_191
; %bb.190:                              ;   in Loop: Header=BB6_140 Depth=2
	v_and_b32_e32 v24, 0x7fffffff, v66
	s_delay_alu instid0(VALU_DEP_1) | instskip(SKIP_1) | instid1(VALU_DEP_2)
	v_div_scale_f32 v117, null, v24, v24, v113
	v_div_scale_f32 v24, vcc_lo, v113, v24, v113
	v_rcp_f32_e32 v118, v117
	v_nop
	s_delay_alu instid0(TRANS32_DEP_1) | instskip(NEXT) | instid1(VALU_DEP_1)
	v_fma_f32 v119, -v117, v118, 1.0
	v_fmac_f32_e32 v118, v119, v118
	s_delay_alu instid0(VALU_DEP_1) | instskip(NEXT) | instid1(VALU_DEP_1)
	v_mul_f32_e32 v113, v24, v118
	v_fma_f32 v119, -v117, v113, v24
	s_delay_alu instid0(VALU_DEP_1) | instskip(NEXT) | instid1(VALU_DEP_1)
	v_fmac_f32_e32 v113, v119, v118
	v_fma_f32 v24, -v117, v113, v24
	s_delay_alu instid0(VALU_DEP_1) | instskip(NEXT) | instid1(VALU_DEP_1)
	v_div_fmas_f32 v24, v24, v118, v113
	v_div_fixup_f32 v24, v24, |v66|, |v19|
	s_delay_alu instid0(VALU_DEP_1) | instskip(NEXT) | instid1(VALU_DEP_1)
	v_fma_f32 v24, v24, v24, 1.0
	v_mul_f32_e32 v113, 0x4f800000, v24
	v_cmp_gt_f32_e32 vcc_lo, 0xf800000, v24
	s_delay_alu instid0(VALU_DEP_2) | instskip(NEXT) | instid1(VALU_DEP_1)
	v_cndmask_b32_e32 v24, v24, v113, vcc_lo
	v_sqrt_f32_e32 v113, v24
	v_nop
	s_delay_alu instid0(TRANS32_DEP_1) | instskip(NEXT) | instid1(VALU_DEP_1)
	v_dual_add_nc_u32 v117, -1, v113 :: v_dual_add_nc_u32 v118, 1, v113
	v_dual_fma_f32 v119, -v117, v113, v24 :: v_dual_fma_f32 v40, -v118, v113, v24
	s_delay_alu instid0(VALU_DEP_1) | instskip(NEXT) | instid1(VALU_DEP_1)
	v_cmp_ge_f32_e64 s3, 0, v119
	v_cndmask_b32_e64 v113, v113, v117, s3
	s_delay_alu instid0(VALU_DEP_3) | instskip(NEXT) | instid1(VALU_DEP_1)
	v_cmp_lt_f32_e64 s3, 0, v40
	v_cndmask_b32_e64 v113, v113, v118, s3
	s_delay_alu instid0(VALU_DEP_1) | instskip(NEXT) | instid1(VALU_DEP_1)
	v_mul_f32_e32 v117, 0x37800000, v113
	v_cndmask_b32_e32 v113, v113, v117, vcc_lo
	v_cmp_class_f32_e64 vcc_lo, v24, 0x260
	s_delay_alu instid0(VALU_DEP_2) | instskip(NEXT) | instid1(VALU_DEP_1)
	v_cndmask_b32_e32 v24, v113, v24, vcc_lo
	v_mul_f32_e64 v24, |v66|, v24
.LBB6_191:                              ;   in Loop: Header=BB6_140 Depth=2
	s_or_b32 exec_lo, exec_lo, s4
	v_cmp_gt_f32_e64 vcc_lo, |v112|, |v99|
	v_add_f32_e32 v118, v112, v99
	s_mov_b32 s3, exec_lo
	v_dual_cndmask_b32 v117, v112, v99, vcc_lo :: v_dual_cndmask_b32 v119, v99, v112, vcc_lo
                                        ; implicit-def: $vgpr112_vgpr113
	s_delay_alu instid0(VALU_DEP_2)
	v_cmpx_ngt_f32_e32 0, v118
	s_xor_b32 s4, exec_lo, s3
	s_cbranch_execz .LBB6_197
; %bb.192:                              ;   in Loop: Header=BB6_140 Depth=2
	s_mov_b32 s3, exec_lo
                                        ; implicit-def: $vgpr112_vgpr113
	v_cmpx_nlt_f32_e32 0, v118
	s_xor_b32 s3, exec_lo, s3
; %bb.193:                              ;   in Loop: Header=BB6_140 Depth=2
	v_pk_mul_f32 v[112:113], v[24:25], v[54:55] op_sel_hi:[0,1]
                                        ; implicit-def: $vgpr118
                                        ; implicit-def: $vgpr119
                                        ; implicit-def: $vgpr117
                                        ; implicit-def: $vgpr116
; %bb.194:                              ;   in Loop: Header=BB6_140 Depth=2
	s_and_not1_saveexec_b32 s13, s3
	s_cbranch_execz .LBB6_196
; %bb.195:                              ;   in Loop: Header=BB6_140 Depth=2
	v_add_f32_e32 v99, v118, v24
	v_cvt_f64_f32_e32 v[118:119], v119
	v_cvt_f64_f32_e32 v[42:43], v116
	;; [unrolled: 1-line block ×3, first 2 shown]
	s_delay_alu instid0(VALU_DEP_4) | instskip(NEXT) | instid1(VALU_DEP_1)
	v_mul_f32_e32 v112, 0.5, v99
	v_cvt_f64_f32_e32 v[40:41], v112
	s_delay_alu instid0(VALU_DEP_1) | instskip(SKIP_2) | instid1(VALU_DEP_3)
	v_div_scale_f64 v[44:45], null, v[40:41], v[40:41], v[118:119]
	v_div_scale_f64 v[46:47], null, v[40:41], v[40:41], v[42:43]
	v_div_scale_f64 v[74:75], vcc_lo, v[118:119], v[40:41], v[118:119]
	v_rcp_f64_e32 v[56:57], v[44:45]
	s_delay_alu instid0(VALU_DEP_2) | instskip(NEXT) | instid1(TRANS32_DEP_2)
	v_rcp_f64_e32 v[58:59], v[46:47]
	v_fma_f64 v[60:61], -v[44:45], v[56:57], 1.0
	s_delay_alu instid0(TRANS32_DEP_1) | instskip(NEXT) | instid1(VALU_DEP_2)
	v_fma_f64 v[62:63], -v[46:47], v[58:59], 1.0
	v_fmac_f64_e32 v[56:57], v[56:57], v[60:61]
	s_delay_alu instid0(VALU_DEP_2) | instskip(NEXT) | instid1(VALU_DEP_2)
	v_fmac_f64_e32 v[58:59], v[58:59], v[62:63]
	v_fma_f64 v[60:61], -v[44:45], v[56:57], 1.0
	s_delay_alu instid0(VALU_DEP_2) | instskip(NEXT) | instid1(VALU_DEP_2)
	v_fma_f64 v[62:63], -v[46:47], v[58:59], 1.0
	v_fmac_f64_e32 v[56:57], v[56:57], v[60:61]
	v_div_scale_f64 v[60:61], s3, v[42:43], v[40:41], v[42:43]
	s_delay_alu instid0(VALU_DEP_3) | instskip(NEXT) | instid1(VALU_DEP_3)
	v_fmac_f64_e32 v[58:59], v[58:59], v[62:63]
	v_mul_f64_e32 v[62:63], v[74:75], v[56:57]
	s_delay_alu instid0(VALU_DEP_2) | instskip(NEXT) | instid1(VALU_DEP_2)
	v_mul_f64_e32 v[76:77], v[60:61], v[58:59]
	v_fma_f64 v[44:45], -v[44:45], v[62:63], v[74:75]
	s_delay_alu instid0(VALU_DEP_2) | instskip(NEXT) | instid1(VALU_DEP_2)
	v_fma_f64 v[46:47], -v[46:47], v[76:77], v[60:61]
	v_div_fmas_f64 v[44:45], v[44:45], v[56:57], v[62:63]
	s_mov_b32 vcc_lo, s3
	s_delay_alu instid0(VALU_DEP_2) | instskip(NEXT) | instid1(VALU_DEP_2)
	v_div_fmas_f64 v[46:47], v[46:47], v[58:59], v[76:77]
	v_div_fixup_f64 v[118:119], v[44:45], v[40:41], v[118:119]
	s_delay_alu instid0(VALU_DEP_2) | instskip(NEXT) | instid1(VALU_DEP_1)
	v_div_fixup_f64 v[46:47], v[46:47], v[40:41], v[42:43]
	v_mul_f64_e32 v[40:41], v[46:47], v[42:43]
	s_delay_alu instid0(VALU_DEP_1) | instskip(NEXT) | instid1(VALU_DEP_1)
	v_fma_f64 v[116:117], v[118:119], v[116:117], -v[40:41]
	v_cvt_f32_f64_e32 v113, v[116:117]
.LBB6_196:                              ;   in Loop: Header=BB6_140 Depth=2
	s_or_b32 exec_lo, exec_lo, s13
                                        ; implicit-def: $vgpr118
                                        ; implicit-def: $vgpr119
                                        ; implicit-def: $vgpr117
                                        ; implicit-def: $vgpr116
.LBB6_197:                              ;   in Loop: Header=BB6_140 Depth=2
	s_or_saveexec_b32 s4, s4
	v_mov_b32_e32 v99, 1
	s_xor_b32 exec_lo, exec_lo, s4
	s_cbranch_execz .LBB6_199
; %bb.198:                              ;   in Loop: Header=BB6_140 Depth=2
	v_sub_f32_e32 v99, v118, v24
	v_cvt_f64_f32_e32 v[118:119], v119
	v_cvt_f64_f32_e32 v[42:43], v116
	;; [unrolled: 1-line block ×3, first 2 shown]
	s_delay_alu instid0(VALU_DEP_4) | instskip(NEXT) | instid1(VALU_DEP_1)
	v_dual_mul_f32 v112, 0.5, v99 :: v_dual_mov_b32 v99, -1
	v_cvt_f64_f32_e32 v[40:41], v112
	s_delay_alu instid0(VALU_DEP_1) | instskip(SKIP_2) | instid1(VALU_DEP_3)
	v_div_scale_f64 v[44:45], null, v[40:41], v[40:41], v[118:119]
	v_div_scale_f64 v[46:47], null, v[40:41], v[40:41], v[42:43]
	v_div_scale_f64 v[74:75], vcc_lo, v[118:119], v[40:41], v[118:119]
	v_rcp_f64_e32 v[56:57], v[44:45]
	s_delay_alu instid0(VALU_DEP_2) | instskip(NEXT) | instid1(TRANS32_DEP_2)
	v_rcp_f64_e32 v[58:59], v[46:47]
	v_fma_f64 v[60:61], -v[44:45], v[56:57], 1.0
	s_delay_alu instid0(TRANS32_DEP_1) | instskip(NEXT) | instid1(VALU_DEP_2)
	v_fma_f64 v[62:63], -v[46:47], v[58:59], 1.0
	v_fmac_f64_e32 v[56:57], v[56:57], v[60:61]
	s_delay_alu instid0(VALU_DEP_2) | instskip(NEXT) | instid1(VALU_DEP_2)
	v_fmac_f64_e32 v[58:59], v[58:59], v[62:63]
	v_fma_f64 v[60:61], -v[44:45], v[56:57], 1.0
	s_delay_alu instid0(VALU_DEP_2) | instskip(NEXT) | instid1(VALU_DEP_2)
	v_fma_f64 v[62:63], -v[46:47], v[58:59], 1.0
	v_fmac_f64_e32 v[56:57], v[56:57], v[60:61]
	v_div_scale_f64 v[60:61], s3, v[42:43], v[40:41], v[42:43]
	s_delay_alu instid0(VALU_DEP_3) | instskip(NEXT) | instid1(VALU_DEP_3)
	v_fmac_f64_e32 v[58:59], v[58:59], v[62:63]
	v_mul_f64_e32 v[62:63], v[74:75], v[56:57]
	s_delay_alu instid0(VALU_DEP_2) | instskip(NEXT) | instid1(VALU_DEP_2)
	v_mul_f64_e32 v[76:77], v[60:61], v[58:59]
	v_fma_f64 v[44:45], -v[44:45], v[62:63], v[74:75]
	s_delay_alu instid0(VALU_DEP_2) | instskip(NEXT) | instid1(VALU_DEP_2)
	v_fma_f64 v[46:47], -v[46:47], v[76:77], v[60:61]
	v_div_fmas_f64 v[44:45], v[44:45], v[56:57], v[62:63]
	s_mov_b32 vcc_lo, s3
	s_delay_alu instid0(VALU_DEP_2) | instskip(NEXT) | instid1(VALU_DEP_2)
	v_div_fmas_f64 v[46:47], v[46:47], v[58:59], v[76:77]
	v_div_fixup_f64 v[118:119], v[44:45], v[40:41], v[118:119]
	s_delay_alu instid0(VALU_DEP_2) | instskip(NEXT) | instid1(VALU_DEP_1)
	v_div_fixup_f64 v[46:47], v[46:47], v[40:41], v[42:43]
	v_mul_f64_e32 v[40:41], v[46:47], v[42:43]
	s_delay_alu instid0(VALU_DEP_1) | instskip(NEXT) | instid1(VALU_DEP_1)
	v_fma_f64 v[116:117], v[118:119], v[116:117], -v[40:41]
	v_cvt_f32_f64_e32 v113, v[116:117]
.LBB6_199:                              ;   in Loop: Header=BB6_140 Depth=2
	s_or_b32 exec_lo, exec_lo, s4
	v_cmp_nle_f32_e64 s3, 0, v66
	s_mov_b32 s13, exec_lo
                                        ; implicit-def: $vgpr116
	v_cndmask_b32_e64 v24, v24, -v24, s3
	s_delay_alu instid0(VALU_DEP_1) | instskip(NEXT) | instid1(VALU_DEP_1)
	v_add_f32_e32 v24, v66, v24
                                        ; implicit-def: $vgpr66
	v_cmpx_ngt_f32_e64 |v24|, |v19|
	s_xor_b32 s13, exec_lo, s13
	s_cbranch_execz .LBB6_203
; %bb.200:                              ;   in Loop: Header=BB6_140 Depth=2
	v_dual_mov_b32 v66, 0 :: v_dual_mov_b32 v116, 1.0
	s_mov_b32 s14, exec_lo
	v_cmpx_neq_f32_e32 0, v19
	s_cbranch_execz .LBB6_202
; %bb.201:                              ;   in Loop: Header=BB6_140 Depth=2
	v_div_scale_f32 v66, null, v19, v19, -v24
	v_div_scale_f32 v118, vcc_lo, -v24, v19, -v24
	s_delay_alu instid0(VALU_DEP_2) | instskip(SKIP_1) | instid1(TRANS32_DEP_1)
	v_rcp_f32_e32 v116, v66
	v_nop
	v_fma_f32 v117, -v66, v116, 1.0
	s_delay_alu instid0(VALU_DEP_1) | instskip(NEXT) | instid1(VALU_DEP_1)
	v_fmac_f32_e32 v116, v117, v116
	v_mul_f32_e32 v117, v118, v116
	s_delay_alu instid0(VALU_DEP_1) | instskip(NEXT) | instid1(VALU_DEP_1)
	v_fma_f32 v119, -v66, v117, v118
	v_fmac_f32_e32 v117, v119, v116
	s_delay_alu instid0(VALU_DEP_1) | instskip(NEXT) | instid1(VALU_DEP_1)
	v_fma_f32 v66, -v66, v117, v118
	v_div_fmas_f32 v66, v66, v116, v117
	s_delay_alu instid0(VALU_DEP_1) | instskip(NEXT) | instid1(VALU_DEP_1)
	v_div_fixup_f32 v19, v66, v19, -v24
	v_fma_f32 v24, v19, v19, 1.0
	s_delay_alu instid0(VALU_DEP_1) | instskip(SKIP_1) | instid1(VALU_DEP_2)
	v_mul_f32_e32 v66, 0x4f800000, v24
	v_cmp_gt_f32_e32 vcc_lo, 0xf800000, v24
	v_cndmask_b32_e32 v24, v24, v66, vcc_lo
	s_delay_alu instid0(VALU_DEP_1) | instskip(SKIP_1) | instid1(TRANS32_DEP_1)
	v_sqrt_f32_e32 v66, v24
	v_nop
	v_dual_add_nc_u32 v116, -1, v66 :: v_dual_add_nc_u32 v117, 1, v66
	s_delay_alu instid0(VALU_DEP_1) | instskip(NEXT) | instid1(VALU_DEP_1)
	v_fma_f32 v118, -v116, v66, v24
	v_cmp_ge_f32_e64 s4, 0, v118
	s_delay_alu instid0(VALU_DEP_1) | instskip(NEXT) | instid1(VALU_DEP_1)
	v_dual_fma_f32 v119, -v117, v66, v24 :: v_dual_cndmask_b32 v66, v66, v116, s4
	v_cmp_lt_f32_e64 s4, 0, v119
	s_delay_alu instid0(VALU_DEP_1) | instskip(NEXT) | instid1(VALU_DEP_1)
	v_cndmask_b32_e64 v66, v66, v117, s4
	v_mul_f32_e32 v116, 0x37800000, v66
	s_delay_alu instid0(VALU_DEP_1) | instskip(SKIP_1) | instid1(VALU_DEP_2)
	v_cndmask_b32_e32 v66, v66, v116, vcc_lo
	v_cmp_class_f32_e64 vcc_lo, v24, 0x260
	v_cndmask_b32_e32 v24, v66, v24, vcc_lo
	s_delay_alu instid0(VALU_DEP_1) | instskip(NEXT) | instid1(VALU_DEP_1)
	v_div_scale_f32 v66, null, v24, v24, 1.0
	v_rcp_f32_e32 v116, v66
	v_nop
	s_delay_alu instid0(TRANS32_DEP_1) | instskip(NEXT) | instid1(VALU_DEP_1)
	v_fma_f32 v117, -v66, v116, 1.0
	v_fmac_f32_e32 v116, v117, v116
	v_div_scale_f32 v117, vcc_lo, 1.0, v24, 1.0
	s_delay_alu instid0(VALU_DEP_1) | instskip(NEXT) | instid1(VALU_DEP_1)
	v_mul_f32_e32 v118, v117, v116
	v_fma_f32 v119, -v66, v118, v117
	s_delay_alu instid0(VALU_DEP_1) | instskip(NEXT) | instid1(VALU_DEP_1)
	v_fmac_f32_e32 v118, v119, v116
	v_fma_f32 v66, -v66, v118, v117
	s_delay_alu instid0(VALU_DEP_1) | instskip(NEXT) | instid1(VALU_DEP_1)
	v_div_fmas_f32 v66, v66, v116, v118
	v_div_fixup_f32 v116, v66, v24, 1.0
	s_delay_alu instid0(VALU_DEP_1)
	v_mul_f32_e32 v66, v19, v116
.LBB6_202:                              ;   in Loop: Header=BB6_140 Depth=2
	s_or_b32 exec_lo, exec_lo, s14
                                        ; implicit-def: $vgpr24
                                        ; implicit-def: $vgpr19
.LBB6_203:                              ;   in Loop: Header=BB6_140 Depth=2
	s_and_not1_saveexec_b32 s13, s13
	s_cbranch_execz .LBB6_205
; %bb.204:                              ;   in Loop: Header=BB6_140 Depth=2
	v_div_scale_f32 v66, null, v24, v24, -v19
	v_div_scale_f32 v118, vcc_lo, -v19, v24, -v19
	s_delay_alu instid0(VALU_DEP_2) | instskip(SKIP_1) | instid1(TRANS32_DEP_1)
	v_rcp_f32_e32 v116, v66
	v_nop
	v_fma_f32 v117, -v66, v116, 1.0
	s_delay_alu instid0(VALU_DEP_1) | instskip(NEXT) | instid1(VALU_DEP_1)
	v_fmac_f32_e32 v116, v117, v116
	v_mul_f32_e32 v117, v118, v116
	s_delay_alu instid0(VALU_DEP_1) | instskip(NEXT) | instid1(VALU_DEP_1)
	v_fma_f32 v119, -v66, v117, v118
	v_fmac_f32_e32 v117, v119, v116
	s_delay_alu instid0(VALU_DEP_1) | instskip(NEXT) | instid1(VALU_DEP_1)
	v_fma_f32 v66, -v66, v117, v118
	v_div_fmas_f32 v66, v66, v116, v117
	s_delay_alu instid0(VALU_DEP_1) | instskip(NEXT) | instid1(VALU_DEP_1)
	v_div_fixup_f32 v19, v66, v24, -v19
	v_fma_f32 v24, v19, v19, 1.0
	s_delay_alu instid0(VALU_DEP_1) | instskip(SKIP_1) | instid1(VALU_DEP_2)
	v_mul_f32_e32 v66, 0x4f800000, v24
	v_cmp_gt_f32_e32 vcc_lo, 0xf800000, v24
	v_cndmask_b32_e32 v24, v24, v66, vcc_lo
	s_delay_alu instid0(VALU_DEP_1) | instskip(SKIP_1) | instid1(TRANS32_DEP_1)
	v_sqrt_f32_e32 v66, v24
	v_nop
	v_dual_add_nc_u32 v116, -1, v66 :: v_dual_add_nc_u32 v117, 1, v66
	s_delay_alu instid0(VALU_DEP_1) | instskip(NEXT) | instid1(VALU_DEP_1)
	v_fma_f32 v118, -v116, v66, v24
	v_cmp_ge_f32_e64 s4, 0, v118
	s_delay_alu instid0(VALU_DEP_1) | instskip(NEXT) | instid1(VALU_DEP_1)
	v_dual_fma_f32 v119, -v117, v66, v24 :: v_dual_cndmask_b32 v66, v66, v116, s4
	v_cmp_lt_f32_e64 s4, 0, v119
	s_delay_alu instid0(VALU_DEP_1) | instskip(NEXT) | instid1(VALU_DEP_1)
	v_cndmask_b32_e64 v66, v66, v117, s4
	v_mul_f32_e32 v116, 0x37800000, v66
	s_delay_alu instid0(VALU_DEP_1) | instskip(SKIP_1) | instid1(VALU_DEP_2)
	v_cndmask_b32_e32 v66, v66, v116, vcc_lo
	v_cmp_class_f32_e64 vcc_lo, v24, 0x260
	v_cndmask_b32_e32 v24, v66, v24, vcc_lo
	s_delay_alu instid0(VALU_DEP_1) | instskip(NEXT) | instid1(VALU_DEP_1)
	v_div_scale_f32 v66, null, v24, v24, 1.0
	v_rcp_f32_e32 v116, v66
	v_nop
	s_delay_alu instid0(TRANS32_DEP_1) | instskip(NEXT) | instid1(VALU_DEP_1)
	v_fma_f32 v117, -v66, v116, 1.0
	v_fmac_f32_e32 v116, v117, v116
	v_div_scale_f32 v117, vcc_lo, 1.0, v24, 1.0
	s_delay_alu instid0(VALU_DEP_1) | instskip(NEXT) | instid1(VALU_DEP_1)
	v_mul_f32_e32 v118, v117, v116
	v_fma_f32 v119, -v66, v118, v117
	s_delay_alu instid0(VALU_DEP_1) | instskip(NEXT) | instid1(VALU_DEP_1)
	v_fmac_f32_e32 v118, v119, v116
	v_fma_f32 v66, -v66, v118, v117
	s_delay_alu instid0(VALU_DEP_1) | instskip(NEXT) | instid1(VALU_DEP_1)
	v_div_fmas_f32 v66, v66, v116, v118
	v_div_fixup_f32 v66, v66, v24, 1.0
	s_delay_alu instid0(VALU_DEP_1)
	v_mul_f32_e32 v116, v19, v66
.LBB6_205:                              ;   in Loop: Header=BB6_140 Depth=2
	s_or_b32 exec_lo, exec_lo, s13
	v_cndmask_b32_e64 v19, 1, -1, s3
	v_add_nc_u64_e32 v[118:119], v[12:13], v[100:101]
	v_add_nc_u64_e32 v[100:101], v[48:49], v[100:101]
	v_lshl_add_u64 v[114:115], v[114:115], 2, v[22:23]
	s_delay_alu instid0(VALU_DEP_4)
	v_cmp_eq_u32_e32 vcc_lo, v99, v19
	v_dual_cndmask_b32 v19, v116, -v66, vcc_lo :: v_dual_cndmask_b32 v24, v66, v116, vcc_lo
	v_add_nc_u32_e32 v66, -2, v98
	s_clause 0x1
	flat_store_b32 v[118:119], v19
	flat_store_b32 v[100:101], v24 offset:-4
	flat_store_b64 v[102:103], v[112:113] offset:-4
	flat_store_b32 v[114:115], v25 offset:-4
	ds_store_b32 v25, v66
	s_wait_xcnt 0x0
	s_or_b32 exec_lo, exec_lo, s9
                                        ; implicit-def: $vgpr102_vgpr103
                                        ; implicit-def: $vgpr99
                                        ; implicit-def: $vgpr98
.LBB6_206:                              ;   in Loop: Header=BB6_140 Depth=2
	s_and_not1_saveexec_b32 s3, s8
	s_cbranch_execz .LBB6_208
.LBB6_207:                              ;   in Loop: Header=BB6_140 Depth=2
	v_add_nc_u32_e32 v19, -1, v98
	flat_store_b32 v[102:103], v99
	ds_store_b32 v25, v19
.LBB6_208:                              ;   in Loop: Header=BB6_140 Depth=2
	s_wait_xcnt 0x0
	s_or_b32 exec_lo, exec_lo, s3
.LBB6_209:                              ;   in Loop: Header=BB6_140 Depth=2
	s_delay_alu instid0(SALU_CYCLE_1)
	s_or_b32 exec_lo, exec_lo, s7
	s_wait_storecnt_dscnt 0x0
	s_barrier_signal -1
	s_barrier_wait -1
	ds_load_b64 v[100:101], v25
	s_wait_dscnt 0x0
	v_cmp_eq_u32_e32 vcc_lo, v101, v100
	s_cbranch_vccnz .LBB6_138
; %bb.210:                              ;   in Loop: Header=BB6_140 Depth=2
	s_and_saveexec_b32 s4, s2
	s_cbranch_execz .LBB6_215
; %bb.211:                              ;   in Loop: Header=BB6_140 Depth=2
	ds_load_b32 v19, v25 offset:16
	v_mul_lo_u32 v102, v101, v20
	s_mov_b32 s7, 0
	s_delay_alu instid0(VALU_DEP_1) | instskip(NEXT) | instid1(VALU_DEP_1)
	v_dual_mov_b32 v116, v0 :: v_dual_ashrrev_i32 v103, 31, v102
	v_lshlrev_b64_e32 v[112:113], 2, v[102:103]
	v_dual_mov_b32 v102, v101 :: v_dual_ashrrev_i32 v103, 31, v101
	s_wait_dscnt 0x0
	v_readfirstlane_b32 s3, v19
	s_delay_alu instid0(VALU_DEP_2) | instskip(NEXT) | instid1(VALU_DEP_2)
	v_lshl_add_u64 v[102:103], v[102:103], 2, v[12:13]
	v_sub_nc_u32_e32 v98, s3, v101
	v_add_nc_u64_e32 v[100:101], v[8:9], v[112:113]
	v_add_nc_u64_e32 v[112:113], v[64:65], v[112:113]
	s_delay_alu instid0(VALU_DEP_3) | instskip(SKIP_1) | instid1(VALU_DEP_2)
	v_ashrrev_i32_e32 v99, 31, v98
	v_cmp_lt_i32_e64 s3, 0, v98
	v_mul_u64_e32 v[114:115], v[98:99], v[20:21]
	s_delay_alu instid0(VALU_DEP_1)
	v_lshl_add_u64 v[114:115], v[114:115], 2, v[100:101]
	s_branch .LBB6_213
.LBB6_212:                              ;   in Loop: Header=BB6_213 Depth=3
	v_lshl_add_u64 v[40:41], v[116:117], 2, v[114:115]
	v_add_nc_u32_e32 v116, v116, v6
	v_add_nc_u64_e32 v[112:113], v[112:113], v[38:39]
	s_wait_loadcnt_dscnt 0x0
	flat_store_b32 v[40:41], v118
	v_cmp_ge_i32_e32 vcc_lo, v116, v2
	s_or_b32 s7, vcc_lo, s7
	s_wait_xcnt 0x0
	s_and_not1_b32 exec_lo, exec_lo, s7
	s_cbranch_execz .LBB6_215
.LBB6_213:                              ;   Parent Loop BB6_6 Depth=1
                                        ;     Parent Loop BB6_140 Depth=2
                                        ; =>    This Loop Header: Depth=3
                                        ;         Child Loop BB6_214 Depth 4
	v_dual_ashrrev_i32 v117, 31, v116 :: v_dual_mov_b32 v19, v98
	v_mov_b64_e32 v[40:41], v[102:103]
	v_mov_b64_e32 v[42:43], v[112:113]
	s_and_not1_b32 vcc_lo, exec_lo, s3
	s_delay_alu instid0(VALU_DEP_3)
	v_lshl_add_u64 v[118:119], v[116:117], 2, v[100:101]
	flat_load_b32 v118, v[118:119]
	s_cbranch_vccnz .LBB6_212
.LBB6_214:                              ;   Parent Loop BB6_6 Depth=1
                                        ;     Parent Loop BB6_140 Depth=2
                                        ;       Parent Loop BB6_213 Depth=3
                                        ; =>      This Inner Loop Header: Depth=4
	v_add_nc_u64_e32 v[44:45], v[40:41], v[32:33]
	s_delay_alu instid0(VALU_DEP_3)
	v_add_nc_u64_e32 v[46:47], v[42:43], v[30:31]
	s_clause 0x1
	flat_load_b32 v56, v[40:41]
	flat_load_b32 v119, v[44:45]
	;; [unrolled: 1-line block ×3, first 2 shown]
	s_wait_loadcnt_dscnt 0x303
	s_wait_xcnt 0x1
	v_mov_b32_e32 v45, v118
	v_add_nc_u64_e32 v[40:41], 4, v[40:41]
	v_add_nc_u32_e32 v19, -1, v19
	s_delay_alu instid0(VALU_DEP_1)
	v_cmp_eq_u32_e32 vcc_lo, 0, v19
	s_and_b32 vcc_lo, exec_lo, vcc_lo
	s_wait_loadcnt_dscnt 0x202
	v_mov_b32_e32 v44, v56
	s_wait_loadcnt_dscnt 0x0
	v_pk_mul_f32 v[58:59], v[118:119], v[56:57]
	s_delay_alu instid0(VALU_DEP_1) | instskip(NEXT) | instid1(VALU_DEP_1)
	v_dual_mov_b32 v118, v57 :: v_dual_add_f32 v24, v58, v59
	v_pk_mul_f32 v[118:119], v[44:45], v[118:119]
	flat_store_b32 v[42:43], v24
	s_wait_xcnt 0x0
	v_mov_b64_e32 v[42:43], v[46:47]
	v_sub_f32_e32 v118, v118, v119
	s_cbranch_vccz .LBB6_214
	s_branch .LBB6_212
.LBB6_215:                              ;   in Loop: Header=BB6_140 Depth=2
	s_or_b32 exec_lo, exec_lo, s4
	s_wait_storecnt_dscnt 0x0
	s_barrier_signal -1
	s_barrier_wait -1
	ds_load_b32 v98, v25
	s_branch .LBB6_139
.LBB6_216:                              ;   in Loop: Header=BB6_140 Depth=2
	s_or_b32 exec_lo, exec_lo, s9
                                        ; implicit-def: $vgpr102_vgpr103
                                        ; implicit-def: $vgpr99
                                        ; implicit-def: $vgpr98
	s_and_not1_saveexec_b32 s3, s8
	s_cbranch_execnz .LBB6_207
	s_branch .LBB6_208
.LBB6_217:                              ;   in Loop: Header=BB6_6 Depth=1
	v_mov_b32_e32 v1, v19
	v_mov_b64_e32 v[70:71], v[102:103]
	v_mov_b64_e32 v[80:81], v[112:113]
	s_branch .LBB6_220
.LBB6_218:                              ;   in Loop: Header=BB6_6 Depth=1
	s_or_b32 exec_lo, exec_lo, s6
.LBB6_219:                              ;   in Loop: Header=BB6_6 Depth=1
	s_delay_alu instid0(SALU_CYCLE_1)
	s_or_b32 exec_lo, exec_lo, s5
.LBB6_220:                              ;   in Loop: Header=BB6_6 Depth=1
	s_barrier_signal -1
	s_barrier_wait -1
	ds_load_b32 v19, v25 offset:24
	s_mov_b32 s3, exec_lo
	s_wait_dscnt 0x0
	v_cmpx_gt_f32_e32 v19, v17
	s_cbranch_execz .LBB6_226
; %bb.221:                              ;   in Loop: Header=BB6_6 Depth=1
	v_div_scale_f32 v24, null, v19, v19, v17
	v_div_scale_f32 v100, vcc_lo, v17, v19, v17
	s_delay_alu instid0(VALU_DEP_2) | instskip(SKIP_1) | instid1(TRANS32_DEP_1)
	v_rcp_f32_e32 v66, v24
	v_nop
	v_fma_f32 v98, -v24, v66, 1.0
	s_delay_alu instid0(VALU_DEP_1) | instskip(SKIP_2) | instid1(VALU_DEP_1)
	v_fmac_f32_e32 v66, v98, v66
	ds_load_2addr_b32 v[98:99], v25 offset0:4 offset1:8
	v_mul_f32_e32 v101, v100, v66
	v_fma_f32 v102, -v24, v101, v100
	s_delay_alu instid0(VALU_DEP_1) | instskip(NEXT) | instid1(VALU_DEP_1)
	v_fmac_f32_e32 v101, v102, v66
	v_fma_f32 v24, -v24, v101, v100
	s_delay_alu instid0(VALU_DEP_1) | instskip(NEXT) | instid1(VALU_DEP_1)
	v_div_fmas_f32 v24, v24, v66, v101
	v_div_fixup_f32 v19, v24, v19, v17
	s_and_saveexec_b32 s4, s0
	s_cbranch_execz .LBB6_223
; %bb.222:                              ;   in Loop: Header=BB6_6 Depth=1
	s_wait_dscnt 0x0
	v_dual_mov_b32 v100, v99 :: v_dual_ashrrev_i32 v101, 31, v99
	s_delay_alu instid0(VALU_DEP_1)
	v_lshl_add_u64 v[100:101], v[100:101], 2, v[4:5]
	flat_load_b32 v24, v[100:101]
	s_wait_loadcnt_dscnt 0x0
	v_mul_f32_e32 v24, v19, v24
	flat_store_b32 v[100:101], v24
.LBB6_223:                              ;   in Loop: Header=BB6_6 Depth=1
	s_wait_xcnt 0x0
	s_or_b32 exec_lo, exec_lo, s4
	s_wait_dscnt 0x0
	v_add_nc_u32_e32 v100, v98, v0
	s_delay_alu instid0(VALU_DEP_1)
	v_cmp_lt_i32_e32 vcc_lo, v100, v99
	s_and_b32 exec_lo, exec_lo, vcc_lo
	s_cbranch_execz .LBB6_226
; %bb.224:                              ;   in Loop: Header=BB6_6 Depth=1
	v_ashrrev_i32_e32 v101, 31, v100
	s_mov_b32 s4, 0
	s_delay_alu instid0(VALU_DEP_1)
	v_lshlrev_b64_e32 v[102:103], 2, v[100:101]
.LBB6_225:                              ;   Parent Loop BB6_6 Depth=1
                                        ; =>  This Inner Loop Header: Depth=2
	s_delay_alu instid0(VALU_DEP_1)
	v_add_nc_u64_e32 v[112:113], v[4:5], v[102:103]
	v_add_nc_u64_e32 v[114:115], v[22:23], v[102:103]
	;; [unrolled: 1-line block ×3, first 2 shown]
	v_add_nc_u32_e32 v100, v100, v6
	flat_load_b32 v24, v[112:113]
	v_cmp_ge_i32_e32 vcc_lo, v100, v99
	s_or_b32 s4, vcc_lo, s4
	s_wait_loadcnt_dscnt 0x0
	v_mul_f32_e32 v24, v19, v24
	flat_store_b32 v[112:113], v24
	flat_load_b32 v24, v[114:115]
	s_wait_loadcnt_dscnt 0x0
	v_mul_f32_e32 v24, v19, v24
	flat_store_b32 v[114:115], v24
	s_wait_xcnt 0x0
	s_and_not1_b32 exec_lo, exec_lo, s4
	s_cbranch_execnz .LBB6_225
.LBB6_226:                              ;   in Loop: Header=BB6_6 Depth=1
	s_or_b32 exec_lo, exec_lo, s3
	ds_load_b32 v19, v25 offset:24
	s_mov_b32 s3, exec_lo
	s_wait_dscnt 0x0
	v_cmpx_lt_f32_e32 v19, v16
	s_cbranch_execz .LBB6_4
; %bb.227:                              ;   in Loop: Header=BB6_6 Depth=1
	v_div_scale_f32 v24, null, v19, v19, v16
	v_div_scale_f32 v100, vcc_lo, v16, v19, v16
	s_delay_alu instid0(VALU_DEP_2) | instskip(SKIP_1) | instid1(TRANS32_DEP_1)
	v_rcp_f32_e32 v66, v24
	v_nop
	v_fma_f32 v98, -v24, v66, 1.0
	s_delay_alu instid0(VALU_DEP_1) | instskip(SKIP_2) | instid1(VALU_DEP_1)
	v_fmac_f32_e32 v66, v98, v66
	ds_load_2addr_b32 v[98:99], v25 offset0:4 offset1:8
	v_mul_f32_e32 v101, v100, v66
	v_fma_f32 v102, -v24, v101, v100
	s_delay_alu instid0(VALU_DEP_1) | instskip(NEXT) | instid1(VALU_DEP_1)
	v_fmac_f32_e32 v101, v102, v66
	v_fma_f32 v24, -v24, v101, v100
	s_delay_alu instid0(VALU_DEP_1) | instskip(NEXT) | instid1(VALU_DEP_1)
	v_div_fmas_f32 v24, v24, v66, v101
	v_div_fixup_f32 v19, v24, v19, v16
	s_and_saveexec_b32 s4, s0
	s_cbranch_execz .LBB6_229
; %bb.228:                              ;   in Loop: Header=BB6_6 Depth=1
	s_wait_dscnt 0x0
	v_dual_mov_b32 v100, v99 :: v_dual_ashrrev_i32 v101, 31, v99
	s_delay_alu instid0(VALU_DEP_1)
	v_lshl_add_u64 v[100:101], v[100:101], 2, v[4:5]
	flat_load_b32 v24, v[100:101]
	s_wait_loadcnt_dscnt 0x0
	v_mul_f32_e32 v24, v19, v24
	flat_store_b32 v[100:101], v24
.LBB6_229:                              ;   in Loop: Header=BB6_6 Depth=1
	s_wait_xcnt 0x0
	s_or_b32 exec_lo, exec_lo, s4
	s_wait_dscnt 0x0
	v_add_nc_u32_e32 v100, v98, v0
	s_delay_alu instid0(VALU_DEP_1)
	v_cmp_lt_i32_e32 vcc_lo, v100, v99
	s_and_b32 exec_lo, exec_lo, vcc_lo
	s_cbranch_execz .LBB6_4
; %bb.230:                              ;   in Loop: Header=BB6_6 Depth=1
	v_ashrrev_i32_e32 v101, 31, v100
	s_mov_b32 s4, 0
	s_delay_alu instid0(VALU_DEP_1)
	v_lshlrev_b64_e32 v[102:103], 2, v[100:101]
.LBB6_231:                              ;   Parent Loop BB6_6 Depth=1
                                        ; =>  This Inner Loop Header: Depth=2
	s_delay_alu instid0(VALU_DEP_1)
	v_add_nc_u64_e32 v[112:113], v[4:5], v[102:103]
	v_add_nc_u64_e32 v[114:115], v[22:23], v[102:103]
	;; [unrolled: 1-line block ×3, first 2 shown]
	v_add_nc_u32_e32 v100, v100, v6
	flat_load_b32 v24, v[112:113]
	v_cmp_ge_i32_e32 vcc_lo, v100, v99
	s_or_b32 s4, vcc_lo, s4
	s_wait_loadcnt_dscnt 0x0
	v_mul_f32_e32 v24, v19, v24
	flat_store_b32 v[112:113], v24
	flat_load_b32 v24, v[114:115]
	s_wait_loadcnt_dscnt 0x0
	v_mul_f32_e32 v24, v19, v24
	flat_store_b32 v[114:115], v24
	s_wait_xcnt 0x0
	s_and_not1_b32 exec_lo, exec_lo, s4
	s_cbranch_execnz .LBB6_231
	s_branch .LBB6_4
.LBB6_232:
	s_or_b32 exec_lo, exec_lo, s10
; %bb.233:
	s_delay_alu instid0(SALU_CYCLE_1)
	s_mov_b32 s2, exec_lo
	v_cmpx_lt_i32_e64 v0, v18
	s_cbranch_execz .LBB6_238
; %bb.234:
	v_dual_ashrrev_i32 v7, 31, v6 :: v_dual_ashrrev_i32 v1, 31, v0
	s_mov_b32 s3, 0
	s_delay_alu instid0(VALU_DEP_1) | instskip(NEXT) | instid1(VALU_DEP_2)
	v_lshlrev_b64_e32 v[12:13], 2, v[6:7]
	v_lshl_add_u64 v[14:15], v[0:1], 2, v[22:23]
	v_mov_b32_e32 v1, 1
	s_branch .LBB6_236
.LBB6_235:                              ;   in Loop: Header=BB6_236 Depth=1
	s_wait_xcnt 0x0
	s_or_b32 exec_lo, exec_lo, s4
	v_add_nc_u32_e32 v0, v0, v6
	v_add_nc_u64_e32 v[14:15], v[14:15], v[12:13]
	s_delay_alu instid0(VALU_DEP_2) | instskip(SKIP_1) | instid1(SALU_CYCLE_1)
	v_cmp_ge_i32_e32 vcc_lo, v0, v18
	s_or_b32 s3, vcc_lo, s3
	s_and_not1_b32 exec_lo, exec_lo, s3
	s_cbranch_execz .LBB6_238
.LBB6_236:                              ; =>This Inner Loop Header: Depth=1
	flat_load_b32 v3, v[14:15]
	s_mov_b32 s4, exec_lo
	s_wait_loadcnt_dscnt 0x0
	s_wait_xcnt 0x0
	v_cmpx_neq_f32_e32 0, v3
	s_cbranch_execz .LBB6_235
; %bb.237:                              ;   in Loop: Header=BB6_236 Depth=1
	flat_atomic_add_u32 v[10:11], v1 scope:SCOPE_DEV
	s_branch .LBB6_235
.LBB6_238:
	s_or_b32 exec_lo, exec_lo, s2
	v_cmp_lt_i32_e32 vcc_lo, 1, v2
	s_mov_b32 s2, 1
	s_and_b32 s3, s1, vcc_lo
	s_delay_alu instid0(SALU_CYCLE_1)
	s_and_saveexec_b32 s1, s3
	s_cbranch_execz .LBB6_252
; %bb.239:
	v_add_nc_u64_e32 v[0:1], 4, v[4:5]
	v_mov_b32_e32 v3, 0
	s_mov_b32 s4, 0
	s_branch .LBB6_241
.LBB6_240:                              ;   in Loop: Header=BB6_241 Depth=1
	s_add_co_i32 s2, s2, 1
	v_add_nc_u64_e32 v[0:1], 4, v[0:1]
	v_cmp_eq_u32_e32 vcc_lo, s2, v2
	s_wait_storecnt_dscnt 0x0
	s_barrier_signal -1
	s_barrier_wait -1
	s_or_b32 s4, vcc_lo, s4
	s_delay_alu instid0(SALU_CYCLE_1)
	s_and_not1_b32 exec_lo, exec_lo, s4
	s_cbranch_execz .LBB6_252
.LBB6_241:                              ; =>This Loop Header: Depth=1
                                        ;     Child Loop BB6_244 Depth 2
                                        ;     Child Loop BB6_250 Depth 2
	s_and_saveexec_b32 s5, s0
	s_cbranch_execz .LBB6_248
; %bb.242:                              ;   in Loop: Header=BB6_241 Depth=1
	s_ashr_i32 s3, s2, 31
	v_mov_b64_e32 v[12:13], v[0:1]
	v_lshl_add_u64 v[6:7], s[2:3], 2, v[4:5]
	s_add_co_i32 s3, s2, -1
	s_mov_b32 s6, 0
	v_dual_mov_b32 v10, s3 :: v_dual_mov_b32 v11, s3
	flat_load_b32 v14, v[6:7] offset:-4
	s_mov_b32 s7, s2
	ds_store_b64 v3, v[10:11]
	s_wait_loadcnt_dscnt 0x1
	ds_store_b32 v3, v14 offset:8
	s_branch .LBB6_244
.LBB6_243:                              ;   in Loop: Header=BB6_244 Depth=2
	s_or_b32 exec_lo, exec_lo, s8
	s_add_co_i32 s7, s7, 1
	v_add_nc_u64_e32 v[12:13], 4, v[12:13]
	v_cmp_eq_u32_e32 vcc_lo, s7, v2
	s_or_b32 s6, vcc_lo, s6
	s_delay_alu instid0(SALU_CYCLE_1)
	s_and_not1_b32 exec_lo, exec_lo, s6
	s_cbranch_execz .LBB6_246
.LBB6_244:                              ;   Parent Loop BB6_241 Depth=1
                                        ; =>  This Inner Loop Header: Depth=2
	flat_load_b32 v11, v[12:13]
	s_mov_b32 s8, exec_lo
	s_wait_loadcnt_dscnt 0x0
	s_wait_xcnt 0x0
	v_cmpx_lt_f32_e32 v11, v14
	s_cbranch_execz .LBB6_243
; %bb.245:                              ;   in Loop: Header=BB6_244 Depth=2
	v_dual_mov_b32 v10, s7 :: v_dual_mov_b32 v14, v11
	ds_store_2addr_b32 v3, v10, v11 offset0:1 offset1:2
	s_branch .LBB6_243
.LBB6_246:                              ;   in Loop: Header=BB6_241 Depth=1
	s_or_b32 exec_lo, exec_lo, s6
	v_cmp_ne_u32_e32 vcc_lo, s3, v10
	s_and_b32 exec_lo, exec_lo, vcc_lo
	s_cbranch_execz .LBB6_248
; %bb.247:                              ;   in Loop: Header=BB6_241 Depth=1
	flat_load_b32 v12, v[6:7] offset:-4
	v_ashrrev_i32_e32 v11, 31, v10
	s_delay_alu instid0(VALU_DEP_1)
	v_lshl_add_u64 v[10:11], v[10:11], 2, v[4:5]
	s_wait_loadcnt_dscnt 0x0
	flat_store_b32 v[10:11], v12
	s_wait_xcnt 0x0
	ds_load_b32 v10, v3 offset:8
	s_wait_dscnt 0x0
	flat_store_b32 v[6:7], v10 offset:-4
.LBB6_248:                              ;   in Loop: Header=BB6_241 Depth=1
	s_wait_xcnt 0x0
	s_or_b32 exec_lo, exec_lo, s5
	s_wait_storecnt_dscnt 0x0
	s_barrier_signal -1
	s_barrier_wait -1
	ds_load_b64 v[6:7], v3
	s_wait_dscnt 0x0
	v_cmp_eq_u32_e32 vcc_lo, v7, v6
	s_cbranch_vccnz .LBB6_240
; %bb.249:                              ;   in Loop: Header=BB6_241 Depth=1
	v_mul_lo_u32 v10, v7, v20
	v_mul_lo_u32 v12, v6, v20
	s_mov_b32 s3, 0
	s_delay_alu instid0(VALU_DEP_1) | instskip(NEXT) | instid1(VALU_DEP_1)
	v_dual_ashrrev_i32 v11, 31, v10 :: v_dual_ashrrev_i32 v13, 31, v12
	v_lshl_add_u64 v[6:7], v[10:11], 2, v[8:9]
	s_delay_alu instid0(VALU_DEP_2)
	v_lshl_add_u64 v[10:11], v[12:13], 2, v[8:9]
	v_mov_b32_e32 v12, v2
.LBB6_250:                              ;   Parent Loop BB6_241 Depth=1
                                        ; =>  This Inner Loop Header: Depth=2
	flat_load_b32 v13, v[6:7]
	flat_load_b32 v14, v[10:11]
	v_add_nc_u32_e32 v12, -1, v12
	s_wait_loadcnt_dscnt 0x101
	flat_store_b32 v[10:11], v13
	s_wait_loadcnt_dscnt 0x1
	flat_store_b32 v[6:7], v14
	v_cmp_eq_u32_e32 vcc_lo, 0, v12
	s_wait_xcnt 0x0
	v_add_nc_u64_e32 v[6:7], 4, v[6:7]
	v_add_nc_u64_e32 v[10:11], 4, v[10:11]
	s_or_b32 s3, vcc_lo, s3
	s_delay_alu instid0(SALU_CYCLE_1)
	s_and_not1_b32 exec_lo, exec_lo, s3
	s_cbranch_execnz .LBB6_250
; %bb.251:                              ;   in Loop: Header=BB6_241 Depth=1
	s_or_b32 exec_lo, exec_lo, s3
	s_branch .LBB6_240
.LBB6_252:
	s_or_b32 exec_lo, exec_lo, s1
	s_clause 0x1c
	scratch_load_b32 v93, off, s32
	scratch_load_b32 v92, off, s32 offset:4
	scratch_load_b32 v91, off, s32 offset:8
	;; [unrolled: 1-line block ×28, first 2 shown]
	s_wait_loadcnt_dscnt 0x0
	s_set_pc_i64 s[30:31]
.Lfunc_end6:
	.size	_ZN9rocsolver6v331009run_steqrIffEEviiiPT0_S3_PT_iPiS3_iS2_S2_S2_b, .Lfunc_end6-_ZN9rocsolver6v331009run_steqrIffEEviiiPT0_S3_PT_iPiS3_iS2_S2_S2_b
                                        ; -- End function
	.set .L_ZN9rocsolver6v331009run_steqrIffEEviiiPT0_S3_PT_iPiS3_iS2_S2_S2_b.num_vgpr, 120
	.set .L_ZN9rocsolver6v331009run_steqrIffEEviiiPT0_S3_PT_iPiS3_iS2_S2_S2_b.num_agpr, 0
	.set .L_ZN9rocsolver6v331009run_steqrIffEEviiiPT0_S3_PT_iPiS3_iS2_S2_S2_b.numbered_sgpr, 33
	.set .L_ZN9rocsolver6v331009run_steqrIffEEviiiPT0_S3_PT_iPiS3_iS2_S2_S2_b.num_named_barrier, 0
	.set .L_ZN9rocsolver6v331009run_steqrIffEEviiiPT0_S3_PT_iPiS3_iS2_S2_S2_b.private_seg_size, 120
	.set .L_ZN9rocsolver6v331009run_steqrIffEEviiiPT0_S3_PT_iPiS3_iS2_S2_S2_b.uses_vcc, 1
	.set .L_ZN9rocsolver6v331009run_steqrIffEEviiiPT0_S3_PT_iPiS3_iS2_S2_S2_b.uses_flat_scratch, 1
	.set .L_ZN9rocsolver6v331009run_steqrIffEEviiiPT0_S3_PT_iPiS3_iS2_S2_S2_b.has_dyn_sized_stack, 0
	.set .L_ZN9rocsolver6v331009run_steqrIffEEviiiPT0_S3_PT_iPiS3_iS2_S2_S2_b.has_recursion, 0
	.set .L_ZN9rocsolver6v331009run_steqrIffEEviiiPT0_S3_PT_iPiS3_iS2_S2_S2_b.has_indirect_call, 0
	.section	.AMDGPU.csdata,"",@progbits
; Function info:
; codeLenInByte = 16380
; TotalNumSgprs: 35
; NumVgprs: 120
; ScratchSize: 120
; MemoryBound: 0
	.section	.text._ZN9rocsolver6v33100L12steqr_kernelIffPfEEviPT0_lS4_lT1_iilPiS4_iS3_S3_S3_,"axG",@progbits,_ZN9rocsolver6v33100L12steqr_kernelIffPfEEviPT0_lS4_lT1_iilPiS4_iS3_S3_S3_,comdat
	.globl	_ZN9rocsolver6v33100L12steqr_kernelIffPfEEviPT0_lS4_lT1_iilPiS4_iS3_S3_S3_ ; -- Begin function _ZN9rocsolver6v33100L12steqr_kernelIffPfEEviPT0_lS4_lT1_iilPiS4_iS3_S3_S3_
	.p2align	8
	.type	_ZN9rocsolver6v33100L12steqr_kernelIffPfEEviPT0_lS4_lT1_iilPiS4_iS3_S3_S3_,@function
_ZN9rocsolver6v33100L12steqr_kernelIffPfEEviPT0_lS4_lT1_iilPiS4_iS3_S3_S3_: ; @_ZN9rocsolver6v33100L12steqr_kernelIffPfEEviPT0_lS4_lT1_iilPiS4_iS3_S3_S3_
; %bb.0:
	s_clause 0x6
	s_load_b32 s28, s[0:1], 0x0
	s_load_b32 s25, s[0:1], 0x6c
	s_load_b32 s26, s[0:1], 0x60
	s_load_b256 s[16:23], s[0:1], 0x8
	s_load_b256 s[4:11], s[0:1], 0x28
	s_load_b64 s[2:3], s[0:1], 0x48
	s_load_b128 s[12:15], s[0:1], 0x50
	s_bfe_u32 s27, ttmp6, 0x4000c
	s_bfe_u32 s29, ttmp6, 0x40010
	s_add_co_i32 s27, s27, 1
	s_and_b32 s24, ttmp6, 15
	s_add_co_i32 s29, s29, 1
	s_mul_i32 s27, ttmp9, s27
	s_bfe_u32 s30, ttmp6, 0x40004
	s_mul_i32 s29, ttmp7, s29
	s_add_co_i32 s27, s24, s27
	s_getreg_b32 s31, hwreg(HW_REG_IB_STS2, 6, 4)
	s_add_co_i32 s30, s30, s29
	s_mov_b32 s32, 0
	v_mov_b32_e32 v18, 1
	s_wait_kmcnt 0x0
	s_lshl_b32 s24, s28, 1
	s_and_b32 s29, s25, 0xffff
	s_ashr_i32 s25, s24, 31
	s_cmp_eq_u32 s31, 0
	s_mul_i32 s31, s26, s29
	s_cselect_b32 s26, ttmp7, s30
	s_cselect_b32 s30, ttmp9, s27
	s_ashr_i32 s27, s26, 31
	v_mad_u32 v0, s30, s29, v0
	s_mul_u64 s[18:19], s[18:19], s[26:27]
	s_mul_u64 s[22:23], s[22:23], s[26:27]
	;; [unrolled: 1-line block ×3, first 2 shown]
	s_lshl_b64 s[18:19], s[18:19], 2
	s_lshl_b64 s[22:23], s[22:23], 2
	s_add_nc_u64 s[16:17], s[16:17], s[18:19]
	s_add_nc_u64 s[18:19], s[20:21], s[22:23]
	s_ashr_i32 s21, s6, 31
	s_lshl_b64 s[8:9], s[8:9], 2
	s_mov_b32 s20, s6
	s_add_nc_u64 s[4:5], s[4:5], s[8:9]
	s_lshl_b64 s[8:9], s[20:21], 2
	s_mul_u64 s[20:21], s[24:25], s[26:27]
	s_add_nc_u64 s[4:5], s[4:5], s[8:9]
	s_lshl_b64 s[8:9], s[20:21], 2
	s_lshl_b64 s[20:21], s[26:27], 2
	s_add_nc_u64 s[2:3], s[2:3], s[8:9]
	s_add_nc_u64 s[10:11], s[10:11], s[20:21]
	v_dual_mov_b32 v1, s31 :: v_dual_mov_b32 v2, s28
	v_dual_mov_b32 v3, s16 :: v_dual_mov_b32 v4, s17
	;; [unrolled: 1-line block ×8, first 2 shown]
	v_mov_b32_e32 v17, s15
	s_add_nc_u64 s[8:9], s[0:1], 0x60
	s_get_pc_i64 s[0:1]
	s_add_nc_u64 s[0:1], s[0:1], _ZN9rocsolver6v331009run_steqrIffEEviiiPT0_S3_PT_iPiS3_iS2_S2_S2_b@rel64+4
	s_delay_alu instid0(SALU_CYCLE_1)
	s_swap_pc_i64 s[30:31], s[0:1]
	s_endpgm
	.section	.rodata,"a",@progbits
	.p2align	6, 0x0
	.amdhsa_kernel _ZN9rocsolver6v33100L12steqr_kernelIffPfEEviPT0_lS4_lT1_iilPiS4_iS3_S3_S3_
		.amdhsa_group_segment_fixed_size 36
		.amdhsa_private_segment_fixed_size 120
		.amdhsa_kernarg_size 352
		.amdhsa_user_sgpr_count 2
		.amdhsa_user_sgpr_dispatch_ptr 0
		.amdhsa_user_sgpr_queue_ptr 0
		.amdhsa_user_sgpr_kernarg_segment_ptr 1
		.amdhsa_user_sgpr_dispatch_id 0
		.amdhsa_user_sgpr_kernarg_preload_length 0
		.amdhsa_user_sgpr_kernarg_preload_offset 0
		.amdhsa_user_sgpr_private_segment_size 0
		.amdhsa_wavefront_size32 1
		.amdhsa_uses_dynamic_stack 0
		.amdhsa_enable_private_segment 1
		.amdhsa_system_sgpr_workgroup_id_x 1
		.amdhsa_system_sgpr_workgroup_id_y 1
		.amdhsa_system_sgpr_workgroup_id_z 0
		.amdhsa_system_sgpr_workgroup_info 0
		.amdhsa_system_vgpr_workitem_id 0
		.amdhsa_next_free_vgpr 120
		.amdhsa_next_free_sgpr 33
		.amdhsa_named_barrier_count 0
		.amdhsa_reserve_vcc 1
		.amdhsa_float_round_mode_32 0
		.amdhsa_float_round_mode_16_64 0
		.amdhsa_float_denorm_mode_32 3
		.amdhsa_float_denorm_mode_16_64 3
		.amdhsa_fp16_overflow 0
		.amdhsa_memory_ordered 1
		.amdhsa_forward_progress 1
		.amdhsa_inst_pref_size 3
		.amdhsa_round_robin_scheduling 0
		.amdhsa_exception_fp_ieee_invalid_op 0
		.amdhsa_exception_fp_denorm_src 0
		.amdhsa_exception_fp_ieee_div_zero 0
		.amdhsa_exception_fp_ieee_overflow 0
		.amdhsa_exception_fp_ieee_underflow 0
		.amdhsa_exception_fp_ieee_inexact 0
		.amdhsa_exception_int_div_zero 0
	.end_amdhsa_kernel
	.section	.text._ZN9rocsolver6v33100L12steqr_kernelIffPfEEviPT0_lS4_lT1_iilPiS4_iS3_S3_S3_,"axG",@progbits,_ZN9rocsolver6v33100L12steqr_kernelIffPfEEviPT0_lS4_lT1_iilPiS4_iS3_S3_S3_,comdat
.Lfunc_end7:
	.size	_ZN9rocsolver6v33100L12steqr_kernelIffPfEEviPT0_lS4_lT1_iilPiS4_iS3_S3_S3_, .Lfunc_end7-_ZN9rocsolver6v33100L12steqr_kernelIffPfEEviPT0_lS4_lT1_iilPiS4_iS3_S3_S3_
                                        ; -- End function
	.set _ZN9rocsolver6v33100L12steqr_kernelIffPfEEviPT0_lS4_lT1_iilPiS4_iS3_S3_S3_.num_vgpr, max(19, .L_ZN9rocsolver6v331009run_steqrIffEEviiiPT0_S3_PT_iPiS3_iS2_S2_S2_b.num_vgpr)
	.set _ZN9rocsolver6v33100L12steqr_kernelIffPfEEviPT0_lS4_lT1_iilPiS4_iS3_S3_S3_.num_agpr, max(0, .L_ZN9rocsolver6v331009run_steqrIffEEviiiPT0_S3_PT_iPiS3_iS2_S2_S2_b.num_agpr)
	.set _ZN9rocsolver6v33100L12steqr_kernelIffPfEEviPT0_lS4_lT1_iilPiS4_iS3_S3_S3_.numbered_sgpr, max(33, .L_ZN9rocsolver6v331009run_steqrIffEEviiiPT0_S3_PT_iPiS3_iS2_S2_S2_b.numbered_sgpr)
	.set _ZN9rocsolver6v33100L12steqr_kernelIffPfEEviPT0_lS4_lT1_iilPiS4_iS3_S3_S3_.num_named_barrier, max(0, .L_ZN9rocsolver6v331009run_steqrIffEEviiiPT0_S3_PT_iPiS3_iS2_S2_S2_b.num_named_barrier)
	.set _ZN9rocsolver6v33100L12steqr_kernelIffPfEEviPT0_lS4_lT1_iilPiS4_iS3_S3_S3_.private_seg_size, 0+max(.L_ZN9rocsolver6v331009run_steqrIffEEviiiPT0_S3_PT_iPiS3_iS2_S2_S2_b.private_seg_size)
	.set _ZN9rocsolver6v33100L12steqr_kernelIffPfEEviPT0_lS4_lT1_iilPiS4_iS3_S3_S3_.uses_vcc, or(1, .L_ZN9rocsolver6v331009run_steqrIffEEviiiPT0_S3_PT_iPiS3_iS2_S2_S2_b.uses_vcc)
	.set _ZN9rocsolver6v33100L12steqr_kernelIffPfEEviPT0_lS4_lT1_iilPiS4_iS3_S3_S3_.uses_flat_scratch, or(0, .L_ZN9rocsolver6v331009run_steqrIffEEviiiPT0_S3_PT_iPiS3_iS2_S2_S2_b.uses_flat_scratch)
	.set _ZN9rocsolver6v33100L12steqr_kernelIffPfEEviPT0_lS4_lT1_iilPiS4_iS3_S3_S3_.has_dyn_sized_stack, or(0, .L_ZN9rocsolver6v331009run_steqrIffEEviiiPT0_S3_PT_iPiS3_iS2_S2_S2_b.has_dyn_sized_stack)
	.set _ZN9rocsolver6v33100L12steqr_kernelIffPfEEviPT0_lS4_lT1_iilPiS4_iS3_S3_S3_.has_recursion, or(0, .L_ZN9rocsolver6v331009run_steqrIffEEviiiPT0_S3_PT_iPiS3_iS2_S2_S2_b.has_recursion)
	.set _ZN9rocsolver6v33100L12steqr_kernelIffPfEEviPT0_lS4_lT1_iilPiS4_iS3_S3_S3_.has_indirect_call, or(0, .L_ZN9rocsolver6v331009run_steqrIffEEviiiPT0_S3_PT_iPiS3_iS2_S2_S2_b.has_indirect_call)
	.section	.AMDGPU.csdata,"",@progbits
; Kernel info:
; codeLenInByte = 348
; TotalNumSgprs: 35
; NumVgprs: 120
; ScratchSize: 120
; MemoryBound: 0
; FloatMode: 240
; IeeeMode: 1
; LDSByteSize: 36 bytes/workgroup (compile time only)
; SGPRBlocks: 0
; VGPRBlocks: 7
; NumSGPRsForWavesPerEU: 35
; NumVGPRsForWavesPerEU: 120
; NamedBarCnt: 0
; Occupancy: 8
; WaveLimiterHint : 0
; COMPUTE_PGM_RSRC2:SCRATCH_EN: 1
; COMPUTE_PGM_RSRC2:USER_SGPR: 2
; COMPUTE_PGM_RSRC2:TRAP_HANDLER: 0
; COMPUTE_PGM_RSRC2:TGID_X_EN: 1
; COMPUTE_PGM_RSRC2:TGID_Y_EN: 1
; COMPUTE_PGM_RSRC2:TGID_Z_EN: 0
; COMPUTE_PGM_RSRC2:TIDIG_COMP_CNT: 0
	.section	.text._ZN9rocsolver6v33100L10init_identIfPfEEviiT0_iil,"axG",@progbits,_ZN9rocsolver6v33100L10init_identIfPfEEviiT0_iil,comdat
	.globl	_ZN9rocsolver6v33100L10init_identIfPfEEviiT0_iil ; -- Begin function _ZN9rocsolver6v33100L10init_identIfPfEEviiT0_iil
	.p2align	8
	.type	_ZN9rocsolver6v33100L10init_identIfPfEEviiT0_iil,@function
_ZN9rocsolver6v33100L10init_identIfPfEEviiT0_iil: ; @_ZN9rocsolver6v33100L10init_identIfPfEEviiT0_iil
; %bb.0:
	s_clause 0x1
	s_load_b32 s5, s[0:1], 0x2c
	s_load_b64 s[2:3], s[0:1], 0x0
	s_bfe_u32 s7, ttmp6, 0x40010
	s_bfe_u32 s10, ttmp6, 0x4000c
	s_and_b32 s6, ttmp7, 0xffff
	s_add_co_i32 s7, s7, 1
	s_add_co_i32 s10, s10, 1
	s_bfe_u32 s8, ttmp6, 0x40004
	s_and_b32 s9, ttmp6, 15
	s_mul_i32 s7, s6, s7
	s_mul_i32 s10, ttmp9, s10
	s_getreg_b32 s4, hwreg(HW_REG_IB_STS2, 6, 4)
	v_and_b32_e32 v1, 0x3ff, v0
	v_bfe_u32 v0, v0, 10, 10
	s_add_co_i32 s8, s8, s7
	s_add_co_i32 s9, s9, s10
	s_wait_kmcnt 0x0
	s_lshr_b32 s7, s5, 16
	s_and_b32 s5, s5, 0xffff
	s_cmp_eq_u32 s4, 0
	s_cselect_b32 s9, ttmp9, s9
	s_cselect_b32 s6, s6, s8
	v_mad_u32 v2, s9, s5, v1
	v_mad_u32 v1, s6, s7, v0
	s_delay_alu instid0(VALU_DEP_2) | instskip(NEXT) | instid1(VALU_DEP_2)
	v_cmp_gt_u32_e32 vcc_lo, s2, v2
	v_cmp_gt_u32_e64 s2, s3, v1
	s_and_b32 s2, vcc_lo, s2
	s_delay_alu instid0(SALU_CYCLE_1)
	s_and_saveexec_b32 s3, s2
	s_cbranch_execz .LBB8_6
; %bb.1:
	s_load_b64 s[2:3], s[0:1], 0x10
	s_mov_b32 s5, exec_lo
                                        ; implicit-def: $vgpr0
	v_cmpx_ne_u32_e64 v2, v1
	s_xor_b32 s5, exec_lo, s5
	s_cbranch_execz .LBB8_3
; %bb.2:
	s_wait_kmcnt 0x0
	v_mad_u32 v0, v1, s3, v2
                                        ; implicit-def: $vgpr2
.LBB8_3:
	s_or_saveexec_b32 s5, s5
	v_mov_b32_e32 v1, 0
	s_xor_b32 exec_lo, exec_lo, s5
	s_cbranch_execz .LBB8_5
; %bb.4:
	s_wait_kmcnt 0x0
	v_mad_u32 v0, v2, s3, v2
	v_mov_b32_e32 v1, 1.0
.LBB8_5:
	s_or_b32 exec_lo, exec_lo, s5
	s_clause 0x1
	s_load_b64 s[6:7], s[0:1], 0x18
	s_load_b64 s[8:9], s[0:1], 0x8
	s_wait_xcnt 0x0
	s_bfe_u32 s0, ttmp6, 0x40014
	s_lshr_b32 s5, ttmp7, 16
	s_add_co_i32 s0, s0, 1
	s_bfe_u32 s1, ttmp6, 0x40008
	s_mul_i32 s0, s5, s0
	s_wait_kmcnt 0x0
	s_ashr_i32 s3, s2, 31
	s_add_co_i32 s0, s1, s0
	s_cmp_eq_u32 s4, 0
	s_mov_b32 s1, 0
	s_cselect_b32 s0, s5, s0
	s_lshl_b64 s[2:3], s[2:3], 2
	s_mul_u64 s[0:1], s[6:7], s[0:1]
	s_delay_alu instid0(SALU_CYCLE_1) | instskip(NEXT) | instid1(SALU_CYCLE_1)
	s_lshl_b64 s[0:1], s[0:1], 2
	s_add_nc_u64 s[0:1], s[8:9], s[0:1]
	s_delay_alu instid0(SALU_CYCLE_1)
	s_add_nc_u64 s[0:1], s[0:1], s[2:3]
	global_store_b32 v0, v1, s[0:1] scale_offset
.LBB8_6:
	s_endpgm
	.section	.rodata,"a",@progbits
	.p2align	6, 0x0
	.amdhsa_kernel _ZN9rocsolver6v33100L10init_identIfPfEEviiT0_iil
		.amdhsa_group_segment_fixed_size 0
		.amdhsa_private_segment_fixed_size 0
		.amdhsa_kernarg_size 288
		.amdhsa_user_sgpr_count 2
		.amdhsa_user_sgpr_dispatch_ptr 0
		.amdhsa_user_sgpr_queue_ptr 0
		.amdhsa_user_sgpr_kernarg_segment_ptr 1
		.amdhsa_user_sgpr_dispatch_id 0
		.amdhsa_user_sgpr_kernarg_preload_length 0
		.amdhsa_user_sgpr_kernarg_preload_offset 0
		.amdhsa_user_sgpr_private_segment_size 0
		.amdhsa_wavefront_size32 1
		.amdhsa_uses_dynamic_stack 0
		.amdhsa_enable_private_segment 0
		.amdhsa_system_sgpr_workgroup_id_x 1
		.amdhsa_system_sgpr_workgroup_id_y 1
		.amdhsa_system_sgpr_workgroup_id_z 1
		.amdhsa_system_sgpr_workgroup_info 0
		.amdhsa_system_vgpr_workitem_id 1
		.amdhsa_next_free_vgpr 3
		.amdhsa_next_free_sgpr 11
		.amdhsa_named_barrier_count 0
		.amdhsa_reserve_vcc 1
		.amdhsa_float_round_mode_32 0
		.amdhsa_float_round_mode_16_64 0
		.amdhsa_float_denorm_mode_32 3
		.amdhsa_float_denorm_mode_16_64 3
		.amdhsa_fp16_overflow 0
		.amdhsa_memory_ordered 1
		.amdhsa_forward_progress 1
		.amdhsa_inst_pref_size 3
		.amdhsa_round_robin_scheduling 0
		.amdhsa_exception_fp_ieee_invalid_op 0
		.amdhsa_exception_fp_denorm_src 0
		.amdhsa_exception_fp_ieee_div_zero 0
		.amdhsa_exception_fp_ieee_overflow 0
		.amdhsa_exception_fp_ieee_underflow 0
		.amdhsa_exception_fp_ieee_inexact 0
		.amdhsa_exception_int_div_zero 0
	.end_amdhsa_kernel
	.section	.text._ZN9rocsolver6v33100L10init_identIfPfEEviiT0_iil,"axG",@progbits,_ZN9rocsolver6v33100L10init_identIfPfEEviiT0_iil,comdat
.Lfunc_end8:
	.size	_ZN9rocsolver6v33100L10init_identIfPfEEviiT0_iil, .Lfunc_end8-_ZN9rocsolver6v33100L10init_identIfPfEEviiT0_iil
                                        ; -- End function
	.set _ZN9rocsolver6v33100L10init_identIfPfEEviiT0_iil.num_vgpr, 3
	.set _ZN9rocsolver6v33100L10init_identIfPfEEviiT0_iil.num_agpr, 0
	.set _ZN9rocsolver6v33100L10init_identIfPfEEviiT0_iil.numbered_sgpr, 11
	.set _ZN9rocsolver6v33100L10init_identIfPfEEviiT0_iil.num_named_barrier, 0
	.set _ZN9rocsolver6v33100L10init_identIfPfEEviiT0_iil.private_seg_size, 0
	.set _ZN9rocsolver6v33100L10init_identIfPfEEviiT0_iil.uses_vcc, 1
	.set _ZN9rocsolver6v33100L10init_identIfPfEEviiT0_iil.uses_flat_scratch, 0
	.set _ZN9rocsolver6v33100L10init_identIfPfEEviiT0_iil.has_dyn_sized_stack, 0
	.set _ZN9rocsolver6v33100L10init_identIfPfEEviiT0_iil.has_recursion, 0
	.set _ZN9rocsolver6v33100L10init_identIfPfEEviiT0_iil.has_indirect_call, 0
	.section	.AMDGPU.csdata,"",@progbits
; Kernel info:
; codeLenInByte = 372
; TotalNumSgprs: 13
; NumVgprs: 3
; ScratchSize: 0
; MemoryBound: 0
; FloatMode: 240
; IeeeMode: 1
; LDSByteSize: 0 bytes/workgroup (compile time only)
; SGPRBlocks: 0
; VGPRBlocks: 0
; NumSGPRsForWavesPerEU: 13
; NumVGPRsForWavesPerEU: 3
; NamedBarCnt: 0
; Occupancy: 16
; WaveLimiterHint : 0
; COMPUTE_PGM_RSRC2:SCRATCH_EN: 0
; COMPUTE_PGM_RSRC2:USER_SGPR: 2
; COMPUTE_PGM_RSRC2:TRAP_HANDLER: 0
; COMPUTE_PGM_RSRC2:TGID_X_EN: 1
; COMPUTE_PGM_RSRC2:TGID_Y_EN: 1
; COMPUTE_PGM_RSRC2:TGID_Z_EN: 1
; COMPUTE_PGM_RSRC2:TIDIG_COMP_CNT: 1
	.section	.text._ZN9rocsolver6v33100L19stedc_divide_kernelIfEEviiiPT_lS3_liPi,"axG",@progbits,_ZN9rocsolver6v33100L19stedc_divide_kernelIfEEviiiPT_lS3_liPi,comdat
	.globl	_ZN9rocsolver6v33100L19stedc_divide_kernelIfEEviiiPT_lS3_liPi ; -- Begin function _ZN9rocsolver6v33100L19stedc_divide_kernelIfEEviiiPT_lS3_liPi
	.p2align	8
	.type	_ZN9rocsolver6v33100L19stedc_divide_kernelIfEEviiiPT_lS3_liPi,@function
_ZN9rocsolver6v33100L19stedc_divide_kernelIfEEviiiPT_lS3_liPi: ; @_ZN9rocsolver6v33100L19stedc_divide_kernelIfEEviiiPT_lS3_liPi
; %bb.0:
	s_clause 0x1
	s_load_b32 s2, s[0:1], 0x4c
	s_load_b32 s3, s[0:1], 0x30
	s_bfe_u32 s4, ttmp6, 0x4000c
	s_and_b32 s5, ttmp6, 15
	s_add_co_i32 s4, s4, 1
	s_getreg_b32 s6, hwreg(HW_REG_IB_STS2, 6, 4)
	s_mul_i32 s4, ttmp9, s4
	s_delay_alu instid0(SALU_CYCLE_1) | instskip(SKIP_4) | instid1(SALU_CYCLE_1)
	s_add_co_i32 s5, s5, s4
	s_wait_kmcnt 0x0
	s_and_b32 s2, s2, 0xffff
	s_cmp_eq_u32 s6, 0
	s_cselect_b32 s4, ttmp9, s5
	v_mad_u32 v2, s4, s2, v0
	s_mov_b32 s2, exec_lo
	s_delay_alu instid0(VALU_DEP_1)
	v_cmpx_gt_i32_e64 s3, v2
	s_cbranch_execz .LBB9_10
; %bb.1:
	s_clause 0x1
	s_load_b96 s[4:6], s[0:1], 0x0
	s_load_b64 s[2:3], s[0:1], 0x38
	s_wait_kmcnt 0x0
	s_mul_i32 s7, s6, 13
	s_cmp_lt_i32 s4, 1
	v_mul_lo_u32 v4, s7, v2
	s_delay_alu instid0(VALU_DEP_1)
	v_dual_mov_b32 v3, s6 :: v_dual_ashrrev_i32 v5, 31, v4
	global_store_b32 v4, v3, s[2:3] scale_offset
	v_lshl_add_u64 v[0:1], v[4:5], 2, s[2:3]
	s_cbranch_scc1 .LBB9_7
; %bb.2:
	s_wait_xcnt 0x0
	v_lshl_add_u64 v[4:5], v[4:5], 2, s[2:3]
	s_mov_b32 s3, 0
	s_mov_b32 s7, 0
	s_delay_alu instid0(VALU_DEP_1)
	v_add_nc_u64_e32 v[4:5], -4, v[4:5]
	s_branch .LBB9_4
.LBB9_3:                                ;   in Loop: Header=BB9_4 Depth=1
	s_add_co_i32 s7, s7, 1
	s_delay_alu instid0(SALU_CYCLE_1)
	s_cmp_eq_u32 s7, s4
	s_cbranch_scc1 .LBB9_7
.LBB9_4:                                ; =>This Loop Header: Depth=1
                                        ;     Child Loop BB9_6 Depth 2
	s_cmp_eq_u32 s7, 31
	s_cbranch_scc1 .LBB9_3
; %bb.5:                                ;   in Loop: Header=BB9_4 Depth=1
	s_lshl_b32 s2, 1, s7
	s_delay_alu instid0(VALU_DEP_1) | instid1(SALU_CYCLE_1)
	v_lshl_add_u64 v[6:7], s[2:3], 2, v[4:5]
	s_add_co_i32 s8, s2, 1
	s_lshl_b32 s2, s2, 1
.LBB9_6:                                ;   Parent Loop BB9_4 Depth=1
                                        ; =>  This Inner Loop Header: Depth=2
	global_load_b32 v3, v[6:7], off
	s_wait_xcnt 0x0
	v_add_nc_u64_e32 v[6:7], -4, v[6:7]
	v_lshl_add_u64 v[10:11], s[2:3], 2, v[0:1]
	s_add_co_i32 s8, s8, -1
	s_add_co_i32 s2, s2, -2
	s_cmp_lt_u32 s8, 2
	s_wait_loadcnt 0x0
	v_lshrrev_b32_e32 v8, 31, v3
	s_delay_alu instid0(VALU_DEP_1) | instskip(NEXT) | instid1(VALU_DEP_1)
	v_dual_add_nc_u32 v8, v3, v8 :: v_dual_bitop2_b32 v3, 1, v3 bitop3:0x40
	v_ashrrev_i32_e32 v8, 1, v8
	s_delay_alu instid0(VALU_DEP_1)
	v_add_nc_u32_e32 v9, v8, v3
	global_store_b64 v[10:11], v[8:9], off offset:-8
	s_cbranch_scc0 .LBB9_6
	s_branch .LBB9_3
.LBB9_7:
	s_wait_xcnt 0x0
	s_ashr_i32 s3, s6, 31
	s_mov_b32 s2, s6
	v_mov_b32_e32 v4, 0
	v_lshl_add_u64 v[6:7], s[2:3], 2, v[0:1]
	s_cmp_lt_i32 s5, 2
	global_store_b32 v[6:7], v4, off
	s_cbranch_scc1 .LBB9_10
; %bb.8:
	s_load_b256 s[8:15], s[0:1], 0x10
	v_ashrrev_i32_e32 v3, 31, v2
	s_wait_xcnt 0x0
	s_lshl_b64 s[0:1], s[2:3], 2
	s_add_co_i32 s2, s5, -1
	s_add_nc_u64 s[0:1], s[0:1], 4
	s_wait_kmcnt 0x0
	v_mul_u64_e32 v[6:7], s[10:11], v[2:3]
	v_mul_u64_e32 v[8:9], s[14:15], v[2:3]
	s_delay_alu instid0(VALU_DEP_2) | instskip(NEXT) | instid1(VALU_DEP_2)
	v_lshl_add_u64 v[2:3], v[6:7], 2, s[8:9]
	v_lshl_add_u64 v[6:7], v[8:9], 2, s[12:13]
.LBB9_9:                                ; =>This Inner Loop Header: Depth=1
	global_load_b32 v5, v[0:1], off
	s_add_co_i32 s2, s2, -1
	s_delay_alu instid0(SALU_CYCLE_1) | instskip(SKIP_3) | instid1(VALU_DEP_1)
	s_cmp_lg_u32 s2, 0
	s_wait_loadcnt 0x0
	s_wait_xcnt 0x2
	v_add_nc_u32_e32 v4, v5, v4
	v_ashrrev_i32_e32 v5, 31, v4
	s_wait_xcnt 0x1
	s_delay_alu instid0(VALU_DEP_1) | instskip(NEXT) | instid1(VALU_DEP_1)
	v_lshlrev_b64_e32 v[8:9], 2, v[4:5]
	v_add_nc_u64_e32 v[10:11], v[6:7], v[8:9]
	v_add_nc_u64_e32 v[8:9], v[2:3], v[8:9]
	global_load_b32 v5, v[10:11], off offset:-4
	global_load_b64 v[12:13], v[8:9], off offset:-4
	s_wait_xcnt 0x1
	v_add_nc_u64_e32 v[10:11], s[0:1], v[0:1]
	v_add_nc_u64_e32 v[0:1], 4, v[0:1]
	s_wait_loadcnt 0x0
	v_dual_sub_f32 v13, v13, v5 :: v_dual_sub_f32 v12, v12, v5
	global_store_b32 v[10:11], v4, off
	global_store_b64 v[8:9], v[12:13], off offset:-4
	s_cbranch_scc1 .LBB9_9
.LBB9_10:
	s_endpgm
	.section	.rodata,"a",@progbits
	.p2align	6, 0x0
	.amdhsa_kernel _ZN9rocsolver6v33100L19stedc_divide_kernelIfEEviiiPT_lS3_liPi
		.amdhsa_group_segment_fixed_size 0
		.amdhsa_private_segment_fixed_size 0
		.amdhsa_kernarg_size 320
		.amdhsa_user_sgpr_count 2
		.amdhsa_user_sgpr_dispatch_ptr 0
		.amdhsa_user_sgpr_queue_ptr 0
		.amdhsa_user_sgpr_kernarg_segment_ptr 1
		.amdhsa_user_sgpr_dispatch_id 0
		.amdhsa_user_sgpr_kernarg_preload_length 0
		.amdhsa_user_sgpr_kernarg_preload_offset 0
		.amdhsa_user_sgpr_private_segment_size 0
		.amdhsa_wavefront_size32 1
		.amdhsa_uses_dynamic_stack 0
		.amdhsa_enable_private_segment 0
		.amdhsa_system_sgpr_workgroup_id_x 1
		.amdhsa_system_sgpr_workgroup_id_y 0
		.amdhsa_system_sgpr_workgroup_id_z 0
		.amdhsa_system_sgpr_workgroup_info 0
		.amdhsa_system_vgpr_workitem_id 0
		.amdhsa_next_free_vgpr 14
		.amdhsa_next_free_sgpr 16
		.amdhsa_named_barrier_count 0
		.amdhsa_reserve_vcc 0
		.amdhsa_float_round_mode_32 0
		.amdhsa_float_round_mode_16_64 0
		.amdhsa_float_denorm_mode_32 3
		.amdhsa_float_denorm_mode_16_64 3
		.amdhsa_fp16_overflow 0
		.amdhsa_memory_ordered 1
		.amdhsa_forward_progress 1
		.amdhsa_inst_pref_size 5
		.amdhsa_round_robin_scheduling 0
		.amdhsa_exception_fp_ieee_invalid_op 0
		.amdhsa_exception_fp_denorm_src 0
		.amdhsa_exception_fp_ieee_div_zero 0
		.amdhsa_exception_fp_ieee_overflow 0
		.amdhsa_exception_fp_ieee_underflow 0
		.amdhsa_exception_fp_ieee_inexact 0
		.amdhsa_exception_int_div_zero 0
	.end_amdhsa_kernel
	.section	.text._ZN9rocsolver6v33100L19stedc_divide_kernelIfEEviiiPT_lS3_liPi,"axG",@progbits,_ZN9rocsolver6v33100L19stedc_divide_kernelIfEEviiiPT_lS3_liPi,comdat
.Lfunc_end9:
	.size	_ZN9rocsolver6v33100L19stedc_divide_kernelIfEEviiiPT_lS3_liPi, .Lfunc_end9-_ZN9rocsolver6v33100L19stedc_divide_kernelIfEEviiiPT_lS3_liPi
                                        ; -- End function
	.set _ZN9rocsolver6v33100L19stedc_divide_kernelIfEEviiiPT_lS3_liPi.num_vgpr, 14
	.set _ZN9rocsolver6v33100L19stedc_divide_kernelIfEEviiiPT_lS3_liPi.num_agpr, 0
	.set _ZN9rocsolver6v33100L19stedc_divide_kernelIfEEviiiPT_lS3_liPi.numbered_sgpr, 16
	.set _ZN9rocsolver6v33100L19stedc_divide_kernelIfEEviiiPT_lS3_liPi.num_named_barrier, 0
	.set _ZN9rocsolver6v33100L19stedc_divide_kernelIfEEviiiPT_lS3_liPi.private_seg_size, 0
	.set _ZN9rocsolver6v33100L19stedc_divide_kernelIfEEviiiPT_lS3_liPi.uses_vcc, 0
	.set _ZN9rocsolver6v33100L19stedc_divide_kernelIfEEviiiPT_lS3_liPi.uses_flat_scratch, 0
	.set _ZN9rocsolver6v33100L19stedc_divide_kernelIfEEviiiPT_lS3_liPi.has_dyn_sized_stack, 0
	.set _ZN9rocsolver6v33100L19stedc_divide_kernelIfEEviiiPT_lS3_liPi.has_recursion, 0
	.set _ZN9rocsolver6v33100L19stedc_divide_kernelIfEEviiiPT_lS3_liPi.has_indirect_call, 0
	.section	.AMDGPU.csdata,"",@progbits
; Kernel info:
; codeLenInByte = 600
; TotalNumSgprs: 16
; NumVgprs: 14
; ScratchSize: 0
; MemoryBound: 0
; FloatMode: 240
; IeeeMode: 1
; LDSByteSize: 0 bytes/workgroup (compile time only)
; SGPRBlocks: 0
; VGPRBlocks: 0
; NumSGPRsForWavesPerEU: 16
; NumVGPRsForWavesPerEU: 14
; NamedBarCnt: 0
; Occupancy: 16
; WaveLimiterHint : 1
; COMPUTE_PGM_RSRC2:SCRATCH_EN: 0
; COMPUTE_PGM_RSRC2:USER_SGPR: 2
; COMPUTE_PGM_RSRC2:TRAP_HANDLER: 0
; COMPUTE_PGM_RSRC2:TGID_X_EN: 1
; COMPUTE_PGM_RSRC2:TGID_Y_EN: 0
; COMPUTE_PGM_RSRC2:TGID_Z_EN: 0
; COMPUTE_PGM_RSRC2:TIDIG_COMP_CNT: 0
	.section	.text._ZN9rocsolver6v33100L18stedc_solve_kernelIfEEviiPT_lS3_lS3_iilPiS3_S4_S2_S2_S2_,"axG",@progbits,_ZN9rocsolver6v33100L18stedc_solve_kernelIfEEviiPT_lS3_lS3_iilPiS3_S4_S2_S2_S2_,comdat
	.globl	_ZN9rocsolver6v33100L18stedc_solve_kernelIfEEviiPT_lS3_lS3_iilPiS3_S4_S2_S2_S2_ ; -- Begin function _ZN9rocsolver6v33100L18stedc_solve_kernelIfEEviiPT_lS3_lS3_iilPiS3_S4_S2_S2_S2_
	.p2align	8
	.type	_ZN9rocsolver6v33100L18stedc_solve_kernelIfEEviiPT_lS3_lS3_iilPiS3_S4_S2_S2_S2_,@function
_ZN9rocsolver6v33100L18stedc_solve_kernelIfEEviiPT_lS3_lS3_iilPiS3_S4_S2_S2_S2_: ; @_ZN9rocsolver6v33100L18stedc_solve_kernelIfEEviiPT_lS3_lS3_iilPiS3_S4_S2_S2_S2_
; %bb.0:
	s_clause 0x3
	s_load_b32 s2, s[0:1], 0x4
	s_load_b32 s8, s[0:1], 0x74
	s_load_b128 s[4:7], s[0:1], 0x28
	s_load_b256 s[12:19], s[0:1], 0x38
	s_bfe_u32 s9, ttmp6, 0x4000c
	s_bfe_u32 s10, ttmp6, 0x40010
	s_add_co_i32 s9, s9, 1
	s_add_co_i32 s10, s10, 1
	s_and_b32 s3, ttmp6, 15
	s_bfe_u32 s11, ttmp6, 0x40004
	s_mul_i32 s9, ttmp9, s9
	s_mul_i32 s10, ttmp7, s10
	s_getreg_b32 s20, hwreg(HW_REG_IB_STS2, 6, 4)
	s_add_co_i32 s9, s3, s9
	s_add_co_i32 s10, s11, s10
	s_mov_b32 s32, 0
	s_wait_kmcnt 0x0
	s_ashr_i32 s3, s2, 31
	s_and_b32 s31, s8, 0xffff
	s_ashr_i32 s11, s6, 31
	s_cmp_eq_u32 s20, 0
	s_cselect_b32 s34, ttmp7, s10
	s_cselect_b32 s10, ttmp9, s9
	s_mul_i32 s33, s34, s2
	v_mov_b32_e32 v1, s10
	s_mul_i32 s8, s33, 13
	s_lshl_b64 s[2:3], s[2:3], 2
	s_ashr_i32 s9, s8, 31
	s_mov_b32 s10, s6
	s_lshl_b64 s[8:9], s[8:9], 2
	s_ashr_i32 s35, s34, 31
	s_add_nc_u64 s[8:9], s[18:19], s[8:9]
	s_delay_alu instid0(SALU_CYCLE_1)
	s_add_nc_u64 s[2:3], s[8:9], s[2:3]
	s_clause 0x1
	global_load_b32 v4, v1, s[2:3] scale_offset
	global_load_b32 v2, v1, s[8:9] scale_offset
	s_clause 0x1
	s_load_b256 s[20:27], s[0:1], 0x8
	s_load_b96 s[28:30], s[0:1], 0x58
	s_add_nc_u64 s[8:9], s[0:1], 0x68
	s_wait_xcnt 0x0
	s_lshl_b64 s[0:1], s[10:11], 2
	s_mul_u64 s[10:11], s[12:13], s[34:35]
	s_get_pc_i64 s[2:3]
	s_add_nc_u64 s[2:3], s[2:3], _ZN9rocsolver6v331009run_steqrIffEEviiiPT0_S3_PT_iPiS3_iS2_S2_S2_b@rel64+4
	s_lshl_b64 s[10:11], s[10:11], 2
	v_mov_b32_e32 v1, s31
	s_add_nc_u64 s[4:5], s[4:5], s[10:11]
	s_delay_alu instid0(SALU_CYCLE_1)
	s_add_nc_u64 s[0:1], s[4:5], s[0:1]
	s_wait_kmcnt 0x0
	s_mul_u64 s[12:13], s[22:23], s[34:35]
	s_mul_u64 s[18:19], s[26:27], s[34:35]
	s_lshl_b64 s[12:13], s[12:13], 2
	s_lshl_b64 s[18:19], s[18:19], 2
	s_lshl_b32 s26, s33, 1
	s_add_nc_u64 s[10:11], s[20:21], s[12:13]
	s_add_nc_u64 s[12:13], s[24:25], s[18:19]
	s_ashr_i32 s27, s26, 31
	s_lshl_b64 s[22:23], s[34:35], 2
	s_lshl_b64 s[18:19], s[26:27], 2
	s_add_nc_u64 s[14:15], s[14:15], s[22:23]
	v_dual_mov_b32 v17, s30 :: v_dual_mov_b32 v15, s28
	v_mov_b32_e32 v16, s29
	s_wait_loadcnt 0x1
	v_mul_lo_u32 v6, v4, s7
	v_dual_ashrrev_i32 v5, 31, v4 :: v_dual_lshlrev_b32 v8, 1, v4
	s_wait_loadcnt 0x0
	v_mul_lo_u32 v14, v2, 30
	s_delay_alu instid0(VALU_DEP_2) | instskip(NEXT) | instid1(VALU_DEP_3)
	v_lshlrev_b64_e32 v[4:5], 2, v[4:5]
	v_dual_ashrrev_i32 v7, 31, v6 :: v_dual_ashrrev_i32 v9, 31, v8
	s_delay_alu instid0(VALU_DEP_2) | instskip(SKIP_2) | instid1(VALU_DEP_4)
	v_add_nc_u64_e32 v[10:11], s[0:1], v[4:5]
	v_add_nc_u64_e32 v[18:19], s[10:11], v[4:5]
	;; [unrolled: 1-line block ×3, first 2 shown]
	v_lshlrev_b64_e32 v[6:7], 2, v[6:7]
	v_lshlrev_b64_e32 v[8:9], 2, v[8:9]
	s_add_nc_u64 s[0:1], s[16:17], s[18:19]
	s_delay_alu instid0(VALU_DEP_4) | instskip(NEXT) | instid1(VALU_DEP_3)
	v_dual_mov_b32 v3, v18 :: v_dual_mov_b32 v4, v19
	v_add_nc_u64_e32 v[22:23], v[10:11], v[6:7]
	s_delay_alu instid0(VALU_DEP_3) | instskip(SKIP_2) | instid1(VALU_DEP_4)
	v_add_nc_u64_e32 v[12:13], s[0:1], v[8:9]
	v_dual_mov_b32 v9, s7 :: v_dual_mov_b32 v10, s14
	v_dual_mov_b32 v11, s15 :: v_dual_mov_b32 v5, v20
	;; [unrolled: 1-line block ×4, first 2 shown]
	s_swap_pc_i64 s[30:31], s[2:3]
	s_endpgm
	.section	.rodata,"a",@progbits
	.p2align	6, 0x0
	.amdhsa_kernel _ZN9rocsolver6v33100L18stedc_solve_kernelIfEEviiPT_lS3_lS3_iilPiS3_S4_S2_S2_S2_
		.amdhsa_group_segment_fixed_size 36
		.amdhsa_private_segment_fixed_size 120
		.amdhsa_kernarg_size 360
		.amdhsa_user_sgpr_count 2
		.amdhsa_user_sgpr_dispatch_ptr 0
		.amdhsa_user_sgpr_queue_ptr 0
		.amdhsa_user_sgpr_kernarg_segment_ptr 1
		.amdhsa_user_sgpr_dispatch_id 0
		.amdhsa_user_sgpr_kernarg_preload_length 0
		.amdhsa_user_sgpr_kernarg_preload_offset 0
		.amdhsa_user_sgpr_private_segment_size 0
		.amdhsa_wavefront_size32 1
		.amdhsa_uses_dynamic_stack 0
		.amdhsa_enable_private_segment 1
		.amdhsa_system_sgpr_workgroup_id_x 1
		.amdhsa_system_sgpr_workgroup_id_y 1
		.amdhsa_system_sgpr_workgroup_id_z 0
		.amdhsa_system_sgpr_workgroup_info 0
		.amdhsa_system_vgpr_workitem_id 0
		.amdhsa_next_free_vgpr 120
		.amdhsa_next_free_sgpr 36
		.amdhsa_named_barrier_count 0
		.amdhsa_reserve_vcc 1
		.amdhsa_float_round_mode_32 0
		.amdhsa_float_round_mode_16_64 0
		.amdhsa_float_denorm_mode_32 3
		.amdhsa_float_denorm_mode_16_64 3
		.amdhsa_fp16_overflow 0
		.amdhsa_memory_ordered 1
		.amdhsa_forward_progress 1
		.amdhsa_inst_pref_size 4
		.amdhsa_round_robin_scheduling 0
		.amdhsa_exception_fp_ieee_invalid_op 0
		.amdhsa_exception_fp_denorm_src 0
		.amdhsa_exception_fp_ieee_div_zero 0
		.amdhsa_exception_fp_ieee_overflow 0
		.amdhsa_exception_fp_ieee_underflow 0
		.amdhsa_exception_fp_ieee_inexact 0
		.amdhsa_exception_int_div_zero 0
	.end_amdhsa_kernel
	.section	.text._ZN9rocsolver6v33100L18stedc_solve_kernelIfEEviiPT_lS3_lS3_iilPiS3_S4_S2_S2_S2_,"axG",@progbits,_ZN9rocsolver6v33100L18stedc_solve_kernelIfEEviiPT_lS3_lS3_iilPiS3_S4_S2_S2_S2_,comdat
.Lfunc_end10:
	.size	_ZN9rocsolver6v33100L18stedc_solve_kernelIfEEviiPT_lS3_lS3_iilPiS3_S4_S2_S2_S2_, .Lfunc_end10-_ZN9rocsolver6v33100L18stedc_solve_kernelIfEEviiPT_lS3_lS3_iilPiS3_S4_S2_S2_S2_
                                        ; -- End function
	.set _ZN9rocsolver6v33100L18stedc_solve_kernelIfEEviiPT_lS3_lS3_iilPiS3_S4_S2_S2_S2_.num_vgpr, max(24, .L_ZN9rocsolver6v331009run_steqrIffEEviiiPT0_S3_PT_iPiS3_iS2_S2_S2_b.num_vgpr)
	.set _ZN9rocsolver6v33100L18stedc_solve_kernelIfEEviiPT_lS3_lS3_iilPiS3_S4_S2_S2_S2_.num_agpr, max(0, .L_ZN9rocsolver6v331009run_steqrIffEEviiiPT0_S3_PT_iPiS3_iS2_S2_S2_b.num_agpr)
	.set _ZN9rocsolver6v33100L18stedc_solve_kernelIfEEviiPT_lS3_lS3_iilPiS3_S4_S2_S2_S2_.numbered_sgpr, max(36, .L_ZN9rocsolver6v331009run_steqrIffEEviiiPT0_S3_PT_iPiS3_iS2_S2_S2_b.numbered_sgpr)
	.set _ZN9rocsolver6v33100L18stedc_solve_kernelIfEEviiPT_lS3_lS3_iilPiS3_S4_S2_S2_S2_.num_named_barrier, max(0, .L_ZN9rocsolver6v331009run_steqrIffEEviiiPT0_S3_PT_iPiS3_iS2_S2_S2_b.num_named_barrier)
	.set _ZN9rocsolver6v33100L18stedc_solve_kernelIfEEviiPT_lS3_lS3_iilPiS3_S4_S2_S2_S2_.private_seg_size, 0+max(.L_ZN9rocsolver6v331009run_steqrIffEEviiiPT0_S3_PT_iPiS3_iS2_S2_S2_b.private_seg_size)
	.set _ZN9rocsolver6v33100L18stedc_solve_kernelIfEEviiPT_lS3_lS3_iilPiS3_S4_S2_S2_S2_.uses_vcc, or(1, .L_ZN9rocsolver6v331009run_steqrIffEEviiiPT0_S3_PT_iPiS3_iS2_S2_S2_b.uses_vcc)
	.set _ZN9rocsolver6v33100L18stedc_solve_kernelIfEEviiPT_lS3_lS3_iilPiS3_S4_S2_S2_S2_.uses_flat_scratch, or(0, .L_ZN9rocsolver6v331009run_steqrIffEEviiiPT0_S3_PT_iPiS3_iS2_S2_S2_b.uses_flat_scratch)
	.set _ZN9rocsolver6v33100L18stedc_solve_kernelIfEEviiPT_lS3_lS3_iilPiS3_S4_S2_S2_S2_.has_dyn_sized_stack, or(0, .L_ZN9rocsolver6v331009run_steqrIffEEviiiPT0_S3_PT_iPiS3_iS2_S2_S2_b.has_dyn_sized_stack)
	.set _ZN9rocsolver6v33100L18stedc_solve_kernelIfEEviiPT_lS3_lS3_iilPiS3_S4_S2_S2_S2_.has_recursion, or(0, .L_ZN9rocsolver6v331009run_steqrIffEEviiiPT0_S3_PT_iPiS3_iS2_S2_S2_b.has_recursion)
	.set _ZN9rocsolver6v33100L18stedc_solve_kernelIfEEviiPT_lS3_lS3_iilPiS3_S4_S2_S2_S2_.has_indirect_call, or(0, .L_ZN9rocsolver6v331009run_steqrIffEEviiiPT0_S3_PT_iPiS3_iS2_S2_S2_b.has_indirect_call)
	.section	.AMDGPU.csdata,"",@progbits
; Kernel info:
; codeLenInByte = 496
; TotalNumSgprs: 38
; NumVgprs: 120
; ScratchSize: 120
; MemoryBound: 0
; FloatMode: 240
; IeeeMode: 1
; LDSByteSize: 36 bytes/workgroup (compile time only)
; SGPRBlocks: 0
; VGPRBlocks: 7
; NumSGPRsForWavesPerEU: 38
; NumVGPRsForWavesPerEU: 120
; NamedBarCnt: 0
; Occupancy: 8
; WaveLimiterHint : 0
; COMPUTE_PGM_RSRC2:SCRATCH_EN: 1
; COMPUTE_PGM_RSRC2:USER_SGPR: 2
; COMPUTE_PGM_RSRC2:TRAP_HANDLER: 0
; COMPUTE_PGM_RSRC2:TGID_X_EN: 1
; COMPUTE_PGM_RSRC2:TGID_Y_EN: 1
; COMPUTE_PGM_RSRC2:TGID_Z_EN: 0
; COMPUTE_PGM_RSRC2:TIDIG_COMP_CNT: 0
	.section	.text._ZN9rocsolver6v33100L37stedc_mergePrepare_DeflateZero_kernelIfEEviiPT_lS3_lS3_iilS3_PiS2_,"axG",@progbits,_ZN9rocsolver6v33100L37stedc_mergePrepare_DeflateZero_kernelIfEEviiPT_lS3_lS3_iilS3_PiS2_,comdat
	.globl	_ZN9rocsolver6v33100L37stedc_mergePrepare_DeflateZero_kernelIfEEviiPT_lS3_lS3_iilS3_PiS2_ ; -- Begin function _ZN9rocsolver6v33100L37stedc_mergePrepare_DeflateZero_kernelIfEEviiPT_lS3_lS3_iilS3_PiS2_
	.p2align	8
	.type	_ZN9rocsolver6v33100L37stedc_mergePrepare_DeflateZero_kernelIfEEviiPT_lS3_lS3_iilS3_PiS2_,@function
_ZN9rocsolver6v33100L37stedc_mergePrepare_DeflateZero_kernelIfEEviiPT_lS3_lS3_iilS3_PiS2_: ; @_ZN9rocsolver6v33100L37stedc_mergePrepare_DeflateZero_kernelIfEEviiPT_lS3_lS3_iilS3_PiS2_
; %bb.0:
	s_clause 0x2
	s_load_b32 s16, s[0:1], 0x4
	s_load_b256 s[4:11], s[0:1], 0x8
	s_load_b64 s[12:13], s[0:1], 0x48
	s_bfe_u32 s15, ttmp6, 0x4000c
	s_bfe_u32 s17, ttmp6, 0x40010
	s_add_co_i32 s15, s15, 1
	s_add_co_i32 s17, s17, 1
	s_and_b32 s14, ttmp6, 15
	s_bfe_u32 s18, ttmp6, 0x40004
	s_mul_i32 s15, ttmp9, s15
	s_mul_i32 s17, ttmp7, s17
	s_getreg_b32 s19, hwreg(HW_REG_IB_STS2, 6, 4)
	s_add_co_i32 s14, s14, s15
	s_add_co_i32 s18, s18, s17
	s_mov_b64 s[2:3], 0xffffffffffffffe8
	s_wait_kmcnt 0x0
	s_ashr_i32 s17, s16, 31
	s_cmp_eq_u32 s19, 0
	s_mul_u64 s[2:3], s[16:17], s[2:3]
	s_cselect_b32 s24, ttmp7, s18
	s_cselect_b32 s20, ttmp9, s14
	s_mul_i32 s33, s16, s24
	s_lshl_b32 s14, s16, 3
	s_mul_i32 s18, s33, 13
	s_ashr_i32 s15, s14, 31
	s_ashr_i32 s19, s18, 31
	s_lshl_b64 s[14:15], s[14:15], 2
	s_lshl_b64 s[18:19], s[18:19], 2
	s_lshl_b32 s20, s20, 1
	s_add_nc_u64 s[12:13], s[12:13], s[18:19]
	s_lshl_b64 s[22:23], s[16:17], 2
	s_add_nc_u64 s[18:19], s[12:13], s[14:15]
	s_ashr_i32 s21, s20, 31
	s_add_nc_u64 s[2:3], s[18:19], s[2:3]
	s_lshl_b64 s[28:29], s[20:21], 2
	s_add_nc_u64 s[12:13], s[2:3], s[22:23]
	s_ashr_i32 s25, s24, 31
	s_add_nc_u64 s[12:13], s[12:13], s[28:29]
	s_mul_u64 s[10:11], s[10:11], s[24:25]
	s_load_b64 s[20:21], s[12:13], 0x0
	s_add_nc_u64 s[2:3], s[2:3], s[28:29]
	s_lshl_b64 s[10:11], s[10:11], 2
	s_load_b64 s[28:29], s[2:3], 0x0
	s_add_nc_u64 s[8:9], s[8:9], s[10:11]
	s_wait_xcnt 0x0
	s_load_b128 s[12:15], s[0:1], 0x38
	s_wait_kmcnt 0x0
	s_ashr_i32 s27, s21, 31
	s_mov_b32 s26, s21
	s_delay_alu instid0(SALU_CYCLE_1)
	s_lshl_b64 s[10:11], s[26:27], 2
	s_add_co_i32 s21, s29, s28
	s_add_nc_u64 s[2:3], s[8:9], s[10:11]
	s_mul_i32 s10, s16, 9
	s_add_nc_u64 s[2:3], s[2:3], -4
	s_load_b32 s34, s[2:3], 0x0
	s_load_b64 s[30:31], s[0:1], 0x28
	s_wait_xcnt 0x0
	s_mul_i32 s2, s33, 10
	s_ashr_i32 s11, s10, 31
	s_ashr_i32 s3, s2, 31
	s_lshl_b64 s[10:11], s[10:11], 2
	s_lshl_b64 s[2:3], s[2:3], 2
	s_delay_alu instid0(SALU_CYCLE_1)
	s_add_nc_u64 s[8:9], s[14:15], s[2:3]
	v_cmp_le_i32_e64 s3, s21, v0
	v_cmp_gt_i32_e64 s2, s21, v0
	s_mov_b32 s14, 0
	s_add_nc_u64 s[10:11], s[8:9], s[10:11]
	s_wait_kmcnt 0x0
	s_add_f32 s33, s34, s34
	s_and_saveexec_b32 s15, s2
	s_cbranch_execz .LBB11_3
; %bb.1:
	s_load_b32 s34, s[0:1], 0x64
	v_dual_mov_b32 v1, s33 :: v_dual_mov_b32 v2, v0
	s_wait_kmcnt 0x0
	s_and_b32 s34, s34, 0xffff
.LBB11_2:                               ; =>This Inner Loop Header: Depth=1
	s_delay_alu instid0(VALU_DEP_1) | instid1(SALU_CYCLE_1)
	v_dual_add_nc_u32 v3, s20, v2 :: v_dual_add_nc_u32 v2, s34, v2
	global_store_b32 v3, v1, s[10:11] scale_offset
	v_cmp_le_i32_e32 vcc_lo, s21, v2
	s_or_b32 s14, vcc_lo, s14
	s_wait_xcnt 0x0
	s_and_not1_b32 exec_lo, exec_lo, s14
	s_cbranch_execnz .LBB11_2
.LBB11_3:
	s_or_b32 exec_lo, exec_lo, s15
	s_load_b64 s[14:15], s[0:1], 0x30
	s_mul_u64 s[12:13], s[12:13], s[24:25]
	v_mov_b32_e32 v1, 0
	s_lshl_b64 s[12:13], s[12:13], 2
	s_delay_alu instid0(SALU_CYCLE_1)
	s_add_nc_u64 s[12:13], s[30:31], s[12:13]
	s_wait_kmcnt 0x0
	s_ashr_i32 s31, s14, 31
	s_mov_b32 s30, s14
	s_mov_b32 s14, exec_lo
	s_lshl_b64 s[30:31], s[30:31], 2
	s_delay_alu instid0(SALU_CYCLE_1)
	s_add_nc_u64 s[12:13], s[12:13], s[30:31]
	v_cmpx_gt_i32_e64 s28, v0
	s_cbranch_execz .LBB11_7
; %bb.4:
	s_load_b32 s34, s[0:1], 0x64
	v_dual_mov_b32 v4, v0 :: v_dual_add_nc_u32 v1, s20, v0
	s_mov_b64 s[30:31], 0x3ff6a09e667f3bcd
	s_mov_b32 s35, 0
	s_delay_alu instid0(VALU_DEP_1) | instskip(SKIP_3) | instid1(SALU_CYCLE_1)
	v_mul_lo_u32 v2, s15, v1
	v_mov_b32_e32 v1, 0
	s_wait_kmcnt 0x0
	s_and_b32 s34, s34, 0xffff
	s_mul_i32 s36, s15, s34
.LBB11_5:                               ; =>This Inner Loop Header: Depth=1
	s_delay_alu instid0(VALU_DEP_2) | instskip(SKIP_1) | instid1(VALU_DEP_2)
	v_dual_ashrrev_i32 v3, 31, v2 :: v_dual_add_nc_u32 v5, s20, v4
	v_add_nc_u32_e32 v4, s34, v4
	v_add_nc_u64_e32 v[6:7], s[26:27], v[2:3]
	v_add_nc_u32_e32 v2, s36, v2
	s_delay_alu instid0(VALU_DEP_2) | instskip(SKIP_3) | instid1(VALU_DEP_1)
	v_lshl_add_u64 v[6:7], v[6:7], 2, s[12:13]
	global_load_b32 v3, v[6:7], off offset:-4
	s_wait_loadcnt 0x0
	v_cvt_f64_f32_e32 v[6:7], v3
	v_div_scale_f64 v[8:9], null, s[30:31], s[30:31], v[6:7]
	v_div_scale_f64 v[14:15], vcc_lo, v[6:7], s[30:31], v[6:7]
	s_delay_alu instid0(VALU_DEP_2) | instskip(SKIP_1) | instid1(TRANS32_DEP_1)
	v_rcp_f64_e32 v[10:11], v[8:9]
	v_nop
	v_fma_f64 v[12:13], -v[8:9], v[10:11], 1.0
	s_delay_alu instid0(VALU_DEP_1) | instskip(NEXT) | instid1(VALU_DEP_1)
	v_fmac_f64_e32 v[10:11], v[10:11], v[12:13]
	v_fma_f64 v[12:13], -v[8:9], v[10:11], 1.0
	s_delay_alu instid0(VALU_DEP_1) | instskip(NEXT) | instid1(VALU_DEP_1)
	v_fmac_f64_e32 v[10:11], v[10:11], v[12:13]
	v_mul_f64_e32 v[12:13], v[14:15], v[10:11]
	s_delay_alu instid0(VALU_DEP_1) | instskip(NEXT) | instid1(VALU_DEP_1)
	v_fma_f64 v[8:9], -v[8:9], v[12:13], v[14:15]
	v_div_fmas_f64 v[8:9], v[8:9], v[10:11], v[12:13]
	v_cmp_le_i32_e32 vcc_lo, s28, v4
	s_or_b32 s35, vcc_lo, s35
	s_delay_alu instid0(VALU_DEP_2) | instskip(NEXT) | instid1(VALU_DEP_1)
	v_div_fixup_f64 v[6:7], v[8:9], s[30:31], v[6:7]
	v_cvt_f32_f64_e32 v3, v[6:7]
	s_delay_alu instid0(VALU_DEP_1)
	v_cmp_lt_f32_e64 s37, v1, |v3|
	global_store_b32 v5, v3, s[8:9] scale_offset
	v_cndmask_b32_e64 v1, v1, |v3|, s37
	s_wait_xcnt 0x0
	s_and_not1_b32 exec_lo, exec_lo, s35
	s_cbranch_execnz .LBB11_5
; %bb.6:
	s_or_b32 exec_lo, exec_lo, s35
.LBB11_7:
	s_delay_alu instid0(SALU_CYCLE_1) | instskip(SKIP_4) | instid1(SALU_CYCLE_1)
	s_or_b32 exec_lo, exec_lo, s14
	s_add_nc_u64 s[30:31], s[0:1], 0x58
	s_mov_b32 s14, exec_lo
	v_cmpx_le_i32_e64 s29, v0
	s_xor_b32 s14, exec_lo, s14
	s_or_saveexec_b32 s14, s14
	v_mov_b64_e32 v[2:3], s[30:31]
	s_xor_b32 exec_lo, exec_lo, s14
	s_cbranch_execz .LBB11_11
; %bb.8:
	s_load_b32 s27, s[0:1], 0x64
	v_dual_mov_b32 v3, v0 :: v_dual_add_nc_u32 v2, s26, v0
	s_mov_b64 s[34:35], 0x3ff6a09e667f3bcd
	s_delay_alu instid0(VALU_DEP_1) | instskip(SKIP_2) | instid1(SALU_CYCLE_1)
	v_mul_lo_u32 v2, s15, v2
	s_wait_kmcnt 0x0
	s_and_b32 s27, s27, 0xffff
	s_mul_i32 s28, s15, s27
	s_mov_b32 s15, 0
.LBB11_9:                               ; =>This Inner Loop Header: Depth=1
	s_delay_alu instid0(VALU_DEP_1) | instskip(SKIP_3) | instid1(VALU_DEP_1)
	v_dual_add_nc_u32 v4, s26, v2 :: v_dual_add_nc_u32 v2, s28, v2
	global_load_b32 v4, v4, s[12:13] scale_offset
	s_wait_loadcnt 0x0
	v_cvt_f64_f32_e32 v[4:5], v4
	v_div_scale_f64 v[6:7], null, s[34:35], s[34:35], v[4:5]
	v_div_scale_f64 v[12:13], vcc_lo, v[4:5], s[34:35], v[4:5]
	s_delay_alu instid0(VALU_DEP_2) | instskip(SKIP_1) | instid1(TRANS32_DEP_1)
	v_rcp_f64_e32 v[8:9], v[6:7]
	v_nop
	v_fma_f64 v[10:11], -v[6:7], v[8:9], 1.0
	s_delay_alu instid0(VALU_DEP_1) | instskip(NEXT) | instid1(VALU_DEP_1)
	v_fmac_f64_e32 v[8:9], v[8:9], v[10:11]
	v_fma_f64 v[10:11], -v[6:7], v[8:9], 1.0
	s_delay_alu instid0(VALU_DEP_1) | instskip(NEXT) | instid1(VALU_DEP_1)
	v_fmac_f64_e32 v[8:9], v[8:9], v[10:11]
	v_mul_f64_e32 v[10:11], v[12:13], v[8:9]
	s_delay_alu instid0(VALU_DEP_1) | instskip(NEXT) | instid1(VALU_DEP_1)
	v_fma_f64 v[6:7], -v[6:7], v[10:11], v[12:13]
	v_div_fmas_f64 v[6:7], v[6:7], v[8:9], v[10:11]
	s_delay_alu instid0(VALU_DEP_1) | instskip(NEXT) | instid1(VALU_DEP_1)
	v_div_fixup_f64 v[4:5], v[6:7], s[34:35], v[4:5]
	v_cvt_f32_f64_e32 v4, v[4:5]
	v_dual_add_nc_u32 v5, s26, v3 :: v_dual_add_nc_u32 v3, s27, v3
	s_delay_alu instid0(VALU_DEP_1) | instskip(SKIP_1) | instid1(VALU_DEP_3)
	v_cmp_le_i32_e32 vcc_lo, s29, v3
	s_or_b32 s15, vcc_lo, s15
	v_cmp_lt_f32_e64 s36, v1, |v4|
	global_store_b32 v5, v4, s[8:9] scale_offset
	v_cndmask_b32_e64 v1, v1, |v4|, s36
	s_wait_xcnt 0x0
	s_and_not1_b32 exec_lo, exec_lo, s15
	s_cbranch_execnz .LBB11_9
; %bb.10:
	s_or_b32 exec_lo, exec_lo, s15
	v_mov_b64_e32 v[2:3], s[30:31]
.LBB11_11:
	s_or_b32 exec_lo, exec_lo, s14
                                        ; implicit-def: $vgpr6
                                        ; implicit-def: $vgpr4
	s_and_saveexec_b32 s12, s3
	s_delay_alu instid0(SALU_CYCLE_1)
	s_xor_b32 s3, exec_lo, s12
	s_cbranch_execz .LBB11_13
; %bb.12:
	global_load_u16 v6, v[2:3], off offset:12
                                        ; implicit-def: $vgpr2_vgpr3
	s_wait_loadcnt 0x0
	v_and_b32_e32 v4, 0xffff, v6
	s_wait_xcnt 0x0
	s_or_saveexec_b32 s3, s3
	v_mov_b32_e32 v5, 0
	s_xor_b32 exec_lo, exec_lo, s3
	s_cbranch_execz .LBB11_17
	s_branch .LBB11_14
.LBB11_13:
	s_or_saveexec_b32 s3, s3
	v_mov_b32_e32 v5, 0
	s_xor_b32 exec_lo, exec_lo, s3
	s_cbranch_execz .LBB11_17
.LBB11_14:
	global_load_u16 v6, v[2:3], off offset:12
	s_mul_u64 s[6:7], s[6:7], s[24:25]
	s_wait_xcnt 0x0
	v_dual_mov_b32 v5, 0 :: v_dual_mov_b32 v2, v0
	s_lshl_b64 s[6:7], s[6:7], 2
	s_delay_alu instid0(SALU_CYCLE_1)
	s_add_nc_u64 s[4:5], s[4:5], s[6:7]
	s_mov_b32 s6, 0
	s_wait_loadcnt 0x0
	v_and_b32_e32 v4, 0xffff, v6
.LBB11_15:                              ; =>This Inner Loop Header: Depth=1
	s_delay_alu instid0(VALU_DEP_1)
	v_dual_add_nc_u32 v3, s20, v2 :: v_dual_add_nc_u32 v2, v2, v4
	global_load_b32 v3, v3, s[4:5] scale_offset
	v_cmp_le_i32_e32 vcc_lo, s21, v2
	s_or_b32 s6, vcc_lo, s6
	s_wait_loadcnt 0x0
	v_cmp_lt_f32_e64 s7, v5, |v3|
	s_delay_alu instid0(VALU_DEP_1)
	v_cndmask_b32_e64 v5, v5, |v3|, s7
	s_wait_xcnt 0x0
	s_and_not1_b32 exec_lo, exec_lo, s6
	s_cbranch_execnz .LBB11_15
; %bb.16:
	s_or_b32 exec_lo, exec_lo, s6
.LBB11_17:
	s_delay_alu instid0(SALU_CYCLE_1)
	s_or_b32 exec_lo, exec_lo, s3
	v_lshlrev_b32_e32 v2, 2, v0
	s_mov_b32 s3, exec_lo
	ds_store_2addr_stride64_b32 v2, v5, v1 offset1:8
	s_wait_storecnt_dscnt 0x0
	s_barrier_signal -1
	s_barrier_wait -1
	v_cmpx_lt_u16_e32 1, v6
	s_cbranch_execz .LBB11_22
; %bb.18:
	v_or_b32_e32 v3, 0x800, v2
	v_mov_b32_e32 v6, v4
	s_mov_b32 s4, 0
	s_branch .LBB11_20
.LBB11_19:                              ;   in Loop: Header=BB11_20 Depth=1
	s_or_b32 exec_lo, exec_lo, s5
	v_cmp_gt_u32_e32 vcc_lo, 4, v6
	v_mov_b32_e32 v6, v7
	s_wait_dscnt 0x0
	s_barrier_signal -1
	s_barrier_wait -1
	s_or_b32 s4, vcc_lo, s4
	s_delay_alu instid0(SALU_CYCLE_1)
	s_and_not1_b32 exec_lo, exec_lo, s4
	s_cbranch_execz .LBB11_22
.LBB11_20:                              ; =>This Inner Loop Header: Depth=1
	s_delay_alu instid0(VALU_DEP_1) | instskip(SKIP_1) | instid1(VALU_DEP_1)
	v_lshrrev_b32_e32 v7, 1, v6
	s_mov_b32 s5, exec_lo
	v_cmpx_lt_u32_e64 v0, v7
	s_cbranch_execz .LBB11_19
; %bb.21:                               ;   in Loop: Header=BB11_20 Depth=1
	v_lshlrev_b32_e32 v8, 2, v7
	s_delay_alu instid0(VALU_DEP_1)
	v_dual_add_nc_u32 v9, v2, v8 :: v_dual_add_nc_u32 v8, v3, v8
	ds_load_b32 v9, v9
	ds_load_b32 v8, v8
	s_wait_dscnt 0x1
	v_cmp_lt_f32_e32 vcc_lo, v5, v9
	v_cndmask_b32_e32 v5, v5, v9, vcc_lo
	s_wait_dscnt 0x0
	v_cmp_lt_f32_e32 vcc_lo, v1, v8
	v_cndmask_b32_e32 v1, v1, v8, vcc_lo
	ds_store_b32 v2, v5
	ds_store_b32 v3, v1
	s_branch .LBB11_19
.LBB11_22:
	s_or_b32 exec_lo, exec_lo, s3
	s_and_saveexec_b32 s3, s2
	s_cbranch_execz .LBB11_27
; %bb.23:
	v_mov_b32_e32 v1, 0
	s_load_b32 s2, s[0:1], 0x50
	s_wait_xcnt 0x0
	s_mov_b64 s[0:1], 0xffffffffffffffec
	s_mov_b32 s4, 0
	s_mul_u64 s[0:1], s[16:17], s[0:1]
	ds_load_2addr_stride64_b32 v[2:3], v1 offset1:8
	s_add_nc_u64 s[0:1], s[10:11], s[0:1]
	s_wait_kmcnt 0x0
	s_mul_f32 s2, s2, 0x41000000
	s_wait_dscnt 0x0
	v_cmp_lt_f32_e32 vcc_lo, v2, v3
	v_dual_cndmask_b32 v1, v2, v3 :: v_dual_mov_b32 v2, v0
	s_delay_alu instid0(VALU_DEP_1)
	v_mul_f32_e32 v1, s2, v1
	s_add_nc_u64 s[2:3], s[0:1], s[22:23]
.LBB11_24:                              ; =>This Inner Loop Header: Depth=1
	s_delay_alu instid0(VALU_DEP_2)
	v_dual_add_nc_u32 v3, s20, v2 :: v_dual_add_nc_u32 v2, v2, v4
	s_clause 0x1
	global_store_b32 v3, v1, s[0:1] scale_offset
	global_store_b32 v3, v1, s[2:3] scale_offset
	v_cmp_le_i32_e32 vcc_lo, s21, v2
	s_or_b32 s4, vcc_lo, s4
	s_wait_xcnt 0x0
	s_and_not1_b32 exec_lo, exec_lo, s4
	s_cbranch_execnz .LBB11_24
; %bb.25:
	s_or_b32 exec_lo, exec_lo, s4
	s_mov_b32 s0, 0
.LBB11_26:                              ; =>This Inner Loop Header: Depth=1
	v_add_nc_u32_e32 v2, s20, v0
	v_add_nc_u32_e32 v0, v0, v4
	global_load_b32 v3, v2, s[8:9] scale_offset
	v_cmp_le_i32_e32 vcc_lo, s21, v0
	s_or_b32 s0, vcc_lo, s0
	s_wait_loadcnt 0x0
	v_mul_f32_e32 v3, s33, v3
	s_delay_alu instid0(VALU_DEP_1) | instskip(NEXT) | instid1(VALU_DEP_1)
	v_cmp_nle_f32_e64 s1, |v3|, v1
	v_cndmask_b32_e64 v3, 0, 1, s1
	global_store_b32 v2, v3, s[18:19] scale_offset
	s_wait_xcnt 0x0
	s_and_not1_b32 exec_lo, exec_lo, s0
	s_cbranch_execnz .LBB11_26
.LBB11_27:
	s_endpgm
	.section	.rodata,"a",@progbits
	.p2align	6, 0x0
	.amdhsa_kernel _ZN9rocsolver6v33100L37stedc_mergePrepare_DeflateZero_kernelIfEEviiPT_lS3_lS3_iilS3_PiS2_
		.amdhsa_group_segment_fixed_size 4096
		.amdhsa_private_segment_fixed_size 0
		.amdhsa_kernarg_size 344
		.amdhsa_user_sgpr_count 2
		.amdhsa_user_sgpr_dispatch_ptr 0
		.amdhsa_user_sgpr_queue_ptr 0
		.amdhsa_user_sgpr_kernarg_segment_ptr 1
		.amdhsa_user_sgpr_dispatch_id 0
		.amdhsa_user_sgpr_kernarg_preload_length 0
		.amdhsa_user_sgpr_kernarg_preload_offset 0
		.amdhsa_user_sgpr_private_segment_size 0
		.amdhsa_wavefront_size32 1
		.amdhsa_uses_dynamic_stack 0
		.amdhsa_enable_private_segment 0
		.amdhsa_system_sgpr_workgroup_id_x 1
		.amdhsa_system_sgpr_workgroup_id_y 1
		.amdhsa_system_sgpr_workgroup_id_z 0
		.amdhsa_system_sgpr_workgroup_info 0
		.amdhsa_system_vgpr_workitem_id 0
		.amdhsa_next_free_vgpr 16
		.amdhsa_next_free_sgpr 38
		.amdhsa_named_barrier_count 0
		.amdhsa_reserve_vcc 1
		.amdhsa_float_round_mode_32 0
		.amdhsa_float_round_mode_16_64 0
		.amdhsa_float_denorm_mode_32 3
		.amdhsa_float_denorm_mode_16_64 3
		.amdhsa_fp16_overflow 0
		.amdhsa_memory_ordered 1
		.amdhsa_forward_progress 1
		.amdhsa_inst_pref_size 14
		.amdhsa_round_robin_scheduling 0
		.amdhsa_exception_fp_ieee_invalid_op 0
		.amdhsa_exception_fp_denorm_src 0
		.amdhsa_exception_fp_ieee_div_zero 0
		.amdhsa_exception_fp_ieee_overflow 0
		.amdhsa_exception_fp_ieee_underflow 0
		.amdhsa_exception_fp_ieee_inexact 0
		.amdhsa_exception_int_div_zero 0
	.end_amdhsa_kernel
	.section	.text._ZN9rocsolver6v33100L37stedc_mergePrepare_DeflateZero_kernelIfEEviiPT_lS3_lS3_iilS3_PiS2_,"axG",@progbits,_ZN9rocsolver6v33100L37stedc_mergePrepare_DeflateZero_kernelIfEEviiPT_lS3_lS3_iilS3_PiS2_,comdat
.Lfunc_end11:
	.size	_ZN9rocsolver6v33100L37stedc_mergePrepare_DeflateZero_kernelIfEEviiPT_lS3_lS3_iilS3_PiS2_, .Lfunc_end11-_ZN9rocsolver6v33100L37stedc_mergePrepare_DeflateZero_kernelIfEEviiPT_lS3_lS3_iilS3_PiS2_
                                        ; -- End function
	.set _ZN9rocsolver6v33100L37stedc_mergePrepare_DeflateZero_kernelIfEEviiPT_lS3_lS3_iilS3_PiS2_.num_vgpr, 16
	.set _ZN9rocsolver6v33100L37stedc_mergePrepare_DeflateZero_kernelIfEEviiPT_lS3_lS3_iilS3_PiS2_.num_agpr, 0
	.set _ZN9rocsolver6v33100L37stedc_mergePrepare_DeflateZero_kernelIfEEviiPT_lS3_lS3_iilS3_PiS2_.numbered_sgpr, 38
	.set _ZN9rocsolver6v33100L37stedc_mergePrepare_DeflateZero_kernelIfEEviiPT_lS3_lS3_iilS3_PiS2_.num_named_barrier, 0
	.set _ZN9rocsolver6v33100L37stedc_mergePrepare_DeflateZero_kernelIfEEviiPT_lS3_lS3_iilS3_PiS2_.private_seg_size, 0
	.set _ZN9rocsolver6v33100L37stedc_mergePrepare_DeflateZero_kernelIfEEviiPT_lS3_lS3_iilS3_PiS2_.uses_vcc, 1
	.set _ZN9rocsolver6v33100L37stedc_mergePrepare_DeflateZero_kernelIfEEviiPT_lS3_lS3_iilS3_PiS2_.uses_flat_scratch, 0
	.set _ZN9rocsolver6v33100L37stedc_mergePrepare_DeflateZero_kernelIfEEviiPT_lS3_lS3_iilS3_PiS2_.has_dyn_sized_stack, 0
	.set _ZN9rocsolver6v33100L37stedc_mergePrepare_DeflateZero_kernelIfEEviiPT_lS3_lS3_iilS3_PiS2_.has_recursion, 0
	.set _ZN9rocsolver6v33100L37stedc_mergePrepare_DeflateZero_kernelIfEEviiPT_lS3_lS3_iilS3_PiS2_.has_indirect_call, 0
	.section	.AMDGPU.csdata,"",@progbits
; Kernel info:
; codeLenInByte = 1772
; TotalNumSgprs: 40
; NumVgprs: 16
; ScratchSize: 0
; MemoryBound: 0
; FloatMode: 240
; IeeeMode: 1
; LDSByteSize: 4096 bytes/workgroup (compile time only)
; SGPRBlocks: 0
; VGPRBlocks: 0
; NumSGPRsForWavesPerEU: 40
; NumVGPRsForWavesPerEU: 16
; NamedBarCnt: 0
; Occupancy: 16
; WaveLimiterHint : 1
; COMPUTE_PGM_RSRC2:SCRATCH_EN: 0
; COMPUTE_PGM_RSRC2:USER_SGPR: 2
; COMPUTE_PGM_RSRC2:TRAP_HANDLER: 0
; COMPUTE_PGM_RSRC2:TGID_X_EN: 1
; COMPUTE_PGM_RSRC2:TGID_Y_EN: 1
; COMPUTE_PGM_RSRC2:TGID_Z_EN: 0
; COMPUTE_PGM_RSRC2:TIDIG_COMP_CNT: 0
	.section	.text._ZN9rocsolver6v33100L31stedc_mergePrepare_SortD_kernelIfEEviiPT_lS3_Pi,"axG",@progbits,_ZN9rocsolver6v33100L31stedc_mergePrepare_SortD_kernelIfEEviiPT_lS3_Pi,comdat
	.globl	_ZN9rocsolver6v33100L31stedc_mergePrepare_SortD_kernelIfEEviiPT_lS3_Pi ; -- Begin function _ZN9rocsolver6v33100L31stedc_mergePrepare_SortD_kernelIfEEviiPT_lS3_Pi
	.p2align	8
	.type	_ZN9rocsolver6v33100L31stedc_mergePrepare_SortD_kernelIfEEviiPT_lS3_Pi,@function
_ZN9rocsolver6v33100L31stedc_mergePrepare_SortD_kernelIfEEviiPT_lS3_Pi: ; @_ZN9rocsolver6v33100L31stedc_mergePrepare_SortD_kernelIfEEviiPT_lS3_Pi
; %bb.0:
	s_clause 0x1
	s_load_b32 s16, s[0:1], 0x4
	s_load_b256 s[8:15], s[0:1], 0x8
	s_bfe_u32 s5, ttmp6, 0x4000c
	s_bfe_u32 s6, ttmp6, 0x40010
	s_load_b32 s19, s[0:1], 0x34
	s_add_co_i32 s5, s5, 1
	s_add_co_i32 s6, s6, 1
	s_and_b32 s4, ttmp6, 15
	s_bfe_u32 s7, ttmp6, 0x40004
	s_wait_xcnt 0x0
	s_mul_i32 s0, ttmp9, s5
	s_mul_i32 s1, ttmp7, s6
	s_getreg_b32 s18, hwreg(HW_REG_IB_STS2, 6, 4)
	s_add_co_i32 s5, s4, s0
	s_add_co_i32 s7, s7, s1
	s_mov_b64 s[2:3], 0xffffffffffffffec
	v_mov_b32_e32 v2, 0
	s_wait_kmcnt 0x0
	s_ashr_i32 s17, s16, 31
	s_cmp_eq_u32 s18, 0
	s_mul_u64 s[0:1], s[16:17], 12
	s_cselect_b32 s4, ttmp7, s7
	s_mul_u64 s[2:3], s[16:17], s[2:3]
	s_cselect_b32 s18, ttmp9, s5
	s_lshl_b64 s[26:27], s[16:17], 2
	s_mul_i32 s17, s4, s16
	s_lshl_b32 s6, s16, 3
	s_mul_i32 s20, s17, 13
	s_ashr_i32 s7, s6, 31
	s_ashr_i32 s21, s20, 31
	s_lshl_b64 s[6:7], s[6:7], 2
	s_lshl_b64 s[20:21], s[20:21], 2
	s_and_b32 s28, s19, 0xffff
	s_add_nc_u64 s[14:15], s[14:15], s[20:21]
	s_sub_nc_u64 s[22:23], 0, s[26:27]
	s_add_nc_u64 s[24:25], s[14:15], s[6:7]
	s_lshl_b32 s29, s28, 3
	s_add_nc_u64 s[20:21], s[24:25], s[22:23]
	s_ashr_i32 s19, s18, 31
	s_cvt_f32_u32 s5, s29
	s_add_nc_u64 s[22:23], s[20:21], s[0:1]
	s_lshl_b64 s[14:15], s[18:19], 2
	s_add_nc_u64 s[0:1], s[22:23], s[2:3]
	v_rcp_iflag_f32_e32 v1, s5
	s_add_nc_u64 s[2:3], s[0:1], s[14:15]
	s_ashr_i32 s5, s4, 31
	s_load_b32 s30, s[2:3], 0x0
	s_add_nc_u64 s[0:1], s[0:1], s[26:27]
	s_delay_alu instid0(SALU_CYCLE_1)
	s_add_nc_u64 s[0:1], s[0:1], s[14:15]
	s_wait_xcnt 0x0
	v_nop
	v_readfirstlane_b32 s2, v1
	v_mov_b32_e32 v1, 0
	s_mul_f32 s6, s2, 0x4f7ffffe
	s_mul_u64 s[2:3], s[10:11], s[4:5]
	s_sub_co_i32 s4, 0, s29
	s_lshl_b64 s[2:3], s[2:3], 2
	s_cvt_u32_f32 s5, s6
	s_add_nc_u64 s[26:27], s[8:9], s[2:3]
	s_load_b32 s11, s[0:1], 0x0
	s_delay_alu instid0(SALU_CYCLE_1)
	s_mul_i32 s4, s4, s5
	s_wait_xcnt 0x0
	s_mul_hi_u32 s0, s5, s4
	s_wait_kmcnt 0x0
	s_add_co_i32 s2, s30, -1
	s_add_co_i32 s5, s5, s0
	s_abs_i32 s3, s2
	s_add_nc_u64 s[0:1], s[26:27], s[14:15]
	s_mul_hi_u32 s4, s3, s5
	s_load_b32 s19, s[0:1], 0x0
	s_wait_xcnt 0x0
	s_mul_i32 s0, s4, s29
	s_ashr_i32 s1, s2, 31
	s_sub_co_i32 s0, s3, s0
	s_add_co_i32 s2, s4, 1
	s_sub_co_i32 s3, s0, s29
	s_cmp_ge_u32 s0, s29
	s_cselect_b32 s2, s2, s4
	s_cselect_b32 s0, s3, s0
	s_add_co_i32 s3, s2, 1
	s_cmp_ge_u32 s0, s29
	s_cselect_b32 s0, s3, s2
	s_delay_alu instid0(SALU_CYCLE_1) | instskip(NEXT) | instid1(SALU_CYCLE_1)
	s_xor_b32 s0, s0, s1
	s_sub_co_i32 s1, s0, s1
	s_mov_b32 s0, -1
	s_cmp_lt_i32 s1, 0
	s_cbranch_scc1 .LBB12_36
; %bb.1:
	s_add_nc_u64 s[2:3], s[24:25], s[14:15]
	v_dual_mov_b32 v2, 0 :: v_dual_mov_b32 v17, v0
	s_load_b32 s33, s[2:3], 0x0
	s_add_co_i32 s31, s1, 1
	s_lshl_b32 s0, s28, 1
	s_delay_alu instid0(VALU_DEP_1) | instskip(SKIP_4) | instid1(VALU_DEP_3)
	v_dual_mov_b32 v7, v2 :: v_dual_mov_b32 v8, v2
	v_dual_mov_b32 v9, v2 :: v_dual_mov_b32 v10, v2
	;; [unrolled: 1-line block ×4, first 2 shown]
	s_mul_i32 s1, s28, 3
	v_mov_b64_e32 v[24:25], v[8:9]
	s_delay_alu instid0(VALU_DEP_3) | instskip(NEXT) | instid1(VALU_DEP_3)
	v_mov_b64_e32 v[18:19], v[2:3]
	v_mov_b64_e32 v[20:21], v[4:5]
	;; [unrolled: 1-line block ×3, first 2 shown]
	s_add_co_i32 s34, s11, s0
	s_add_co_i32 s35, s11, s1
	s_lshl_b32 s0, s28, 2
	s_mul_i32 s1, s28, 5
	v_dual_mov_b32 v1, v2 :: v_dual_mov_b32 v12, v2
	v_dual_mov_b32 v11, v2 :: v_dual_mov_b32 v14, v2
	v_dual_mov_b32 v13, v2 :: v_dual_mov_b32 v26, v2
	v_dual_mov_b32 v27, v2 :: v_dual_mov_b32 v28, v2
	v_dual_mov_b32 v16, v2 :: v_dual_mov_b32 v15, v2
	s_add_co_i32 s36, s11, s0
	s_add_co_i32 s37, s11, s1
	s_mul_i32 s0, s28, 6
	s_mul_i32 s1, s28, 7
	s_add_co_i32 s38, s11, s0
	s_add_co_i32 s39, s11, s1
	;; [unrolled: 1-line block ×3, first 2 shown]
	s_branch .LBB12_3
.LBB12_2:                               ;   in Loop: Header=BB12_3 Depth=1
	s_or_b32 exec_lo, exec_lo, s4
	v_add_nc_u32_e32 v17, s29, v17
	s_add_co_i32 s31, s31, -1
	s_delay_alu instid0(SALU_CYCLE_1)
	s_cmp_eq_u32 s31, 0
	s_cbranch_scc1 .LBB12_35
.LBB12_3:                               ; =>This Inner Loop Header: Depth=1
	s_delay_alu instid0(VALU_DEP_1)
	v_cmp_gt_i32_e64 s6, s30, v17
	v_add_nc_u32_e32 v29, s11, v17
	s_and_saveexec_b32 s0, s6
	s_cbranch_execz .LBB12_5
; %bb.4:                                ;   in Loop: Header=BB12_3 Depth=1
	s_wait_loadcnt 0x1
	global_load_b32 v10, v29, s[26:27] scale_offset
	s_wait_loadcnt 0x1
	global_load_b32 v18, v29, s[24:25] scale_offset
.LBB12_5:                               ;   in Loop: Header=BB12_3 Depth=1
	s_wait_xcnt 0x0
	s_or_b32 exec_lo, exec_lo, s0
	v_dual_add_nc_u32 v3, s28, v17 :: v_dual_add_nc_u32 v9, s40, v17
	s_delay_alu instid0(VALU_DEP_1)
	v_cmp_gt_i32_e64 s5, s30, v3
	s_and_saveexec_b32 s0, s5
	s_cbranch_execz .LBB12_7
; %bb.6:                                ;   in Loop: Header=BB12_3 Depth=1
	s_wait_loadcnt 0x1
	global_load_b32 v1, v9, s[26:27] scale_offset
	s_wait_loadcnt 0x1
	global_load_b32 v19, v9, s[24:25] scale_offset
.LBB12_7:                               ;   in Loop: Header=BB12_3 Depth=1
	s_wait_xcnt 0x0
	s_or_b32 exec_lo, exec_lo, s0
	v_dual_add_nc_u32 v3, s28, v3 :: v_dual_add_nc_u32 v8, s34, v17
	s_delay_alu instid0(VALU_DEP_1)
	v_cmp_gt_i32_e64 s4, s30, v3
	;; [unrolled: 13-line block ×3, first 2 shown]
	s_and_saveexec_b32 s0, s3
	s_cbranch_execz .LBB12_11
; %bb.10:                               ;   in Loop: Header=BB12_3 Depth=1
	s_wait_loadcnt 0x1
	global_load_b32 v11, v7, s[26:27] scale_offset
	s_wait_loadcnt 0x1
	global_load_b32 v21, v7, s[24:25] scale_offset
.LBB12_11:                              ;   in Loop: Header=BB12_3 Depth=1
	s_wait_xcnt 0x0
	s_or_b32 exec_lo, exec_lo, s0
	v_dual_add_nc_u32 v3, s28, v3 :: v_dual_add_nc_u32 v6, s36, v17
	s_delay_alu instid0(VALU_DEP_1)
	v_cmp_gt_i32_e64 s2, s30, v3
	s_and_saveexec_b32 s0, s2
	s_cbranch_execz .LBB12_13
; %bb.12:                               ;   in Loop: Header=BB12_3 Depth=1
	s_wait_loadcnt 0x1
	global_load_b32 v14, v6, s[26:27] scale_offset
	s_wait_loadcnt 0x1
	global_load_b32 v22, v6, s[24:25] scale_offset
.LBB12_13:                              ;   in Loop: Header=BB12_3 Depth=1
	s_wait_xcnt 0x0
	s_or_b32 exec_lo, exec_lo, s0
	v_dual_add_nc_u32 v3, s28, v3 :: v_dual_add_nc_u32 v5, s37, v17
	s_delay_alu instid0(VALU_DEP_1)
	v_cmp_gt_i32_e64 s1, s30, v3
	;; [unrolled: 13-line block ×3, first 2 shown]
	s_and_saveexec_b32 s7, s0
	s_cbranch_execz .LBB12_17
; %bb.16:                               ;   in Loop: Header=BB12_3 Depth=1
	s_wait_loadcnt 0x1
	global_load_b32 v16, v4, s[26:27] scale_offset
	s_wait_loadcnt 0x1
	global_load_b32 v24, v4, s[24:25] scale_offset
.LBB12_17:                              ;   in Loop: Header=BB12_3 Depth=1
	s_wait_xcnt 0x0
	s_or_b32 exec_lo, exec_lo, s7
	v_add_nc_u32_e32 v3, s28, v3
	s_delay_alu instid0(VALU_DEP_1)
	v_cmp_gt_i32_e32 vcc_lo, s30, v3
	v_add_nc_u32_e32 v3, s39, v17
	s_and_saveexec_b32 s7, vcc_lo
	s_cbranch_execnz .LBB12_26
; %bb.18:                               ;   in Loop: Header=BB12_3 Depth=1
	s_or_b32 exec_lo, exec_lo, s7
	s_and_saveexec_b32 s41, s6
	s_cbranch_execnz .LBB12_27
.LBB12_19:                              ;   in Loop: Header=BB12_3 Depth=1
	s_or_b32 exec_lo, exec_lo, s41
	s_and_saveexec_b32 s10, s5
	s_cbranch_execnz .LBB12_28
.LBB12_20:                              ;   in Loop: Header=BB12_3 Depth=1
	s_or_b32 exec_lo, exec_lo, s10
	s_and_saveexec_b32 s9, s4
	s_cbranch_execnz .LBB12_29
.LBB12_21:                              ;   in Loop: Header=BB12_3 Depth=1
	s_or_b32 exec_lo, exec_lo, s9
	s_and_saveexec_b32 s8, s3
	s_cbranch_execnz .LBB12_30
.LBB12_22:                              ;   in Loop: Header=BB12_3 Depth=1
	s_or_b32 exec_lo, exec_lo, s8
	s_and_saveexec_b32 s7, s2
	s_cbranch_execnz .LBB12_31
.LBB12_23:                              ;   in Loop: Header=BB12_3 Depth=1
	s_or_b32 exec_lo, exec_lo, s7
	s_and_saveexec_b32 s6, s1
	s_cbranch_execnz .LBB12_32
.LBB12_24:                              ;   in Loop: Header=BB12_3 Depth=1
	s_or_b32 exec_lo, exec_lo, s6
	s_and_saveexec_b32 s5, s0
	s_cbranch_execnz .LBB12_33
.LBB12_25:                              ;   in Loop: Header=BB12_3 Depth=1
	s_or_b32 exec_lo, exec_lo, s5
	s_and_saveexec_b32 s4, vcc_lo
	s_cbranch_execz .LBB12_2
	s_branch .LBB12_34
.LBB12_26:                              ;   in Loop: Header=BB12_3 Depth=1
	s_wait_loadcnt 0x1
	global_load_b32 v15, v3, s[26:27] scale_offset
	s_wait_loadcnt 0x1
	global_load_b32 v25, v3, s[24:25] scale_offset
	s_wait_xcnt 0x0
	s_or_b32 exec_lo, exec_lo, s7
	s_and_saveexec_b32 s41, s6
	s_cbranch_execz .LBB12_19
.LBB12_27:                              ;   in Loop: Header=BB12_3 Depth=1
	s_wait_loadcnt 0x1
	v_cmp_u_f32_e64 s6, v10, v10
	s_wait_loadcnt 0x0
	s_wait_kmcnt 0x0
	v_cmp_eq_u32_e64 s7, s33, v18
	v_cmp_gt_f32_e64 s8, s19, v10
	v_cmp_lt_i32_e64 s10, 0, v18
	v_cmp_eq_f32_e64 s9, s19, v10
	v_add_co_ci_u32_e64 v26, null, 0, v26, s6
	v_cmp_lt_i32_e64 s6, s33, v18
	s_delay_alu instid0(VALU_DEP_4) | instskip(SKIP_4) | instid1(SALU_CYCLE_1)
	v_add_co_ci_u32_e64 v2, null, 0, v2, s10
	s_and_b32 s10, s7, s8
	v_cmp_gt_i32_e64 s8, s18, v29
	s_and_b32 s7, s7, s9
	s_or_b32 s6, s6, s10
	v_add_co_ci_u32_e64 v28, null, 0, v28, s6
	s_and_b32 s6, s7, s8
	s_delay_alu instid0(SALU_CYCLE_1)
	v_add_co_ci_u32_e64 v27, null, 0, v27, s6
	s_or_b32 exec_lo, exec_lo, s41
	s_and_saveexec_b32 s10, s5
	s_cbranch_execz .LBB12_20
.LBB12_28:                              ;   in Loop: Header=BB12_3 Depth=1
	s_wait_loadcnt 0x1
	v_cmp_u_f32_e64 s5, v1, v1
	s_wait_loadcnt 0x0
	s_wait_kmcnt 0x0
	v_cmp_eq_u32_e64 s6, s33, v19
	v_cmp_gt_f32_e64 s7, s19, v1
	v_cmp_lt_i32_e64 s9, 0, v19
	v_cmp_eq_f32_e64 s8, s19, v1
	v_add_co_ci_u32_e64 v26, null, 0, v26, s5
	v_cmp_lt_i32_e64 s5, s33, v19
	s_delay_alu instid0(VALU_DEP_4) | instskip(SKIP_4) | instid1(SALU_CYCLE_1)
	v_add_co_ci_u32_e64 v2, null, 0, v2, s9
	s_and_b32 s9, s6, s7
	v_cmp_gt_i32_e64 s7, s18, v9
	s_and_b32 s6, s6, s8
	s_or_b32 s5, s5, s9
	v_add_co_ci_u32_e64 v28, null, 0, v28, s5
	s_and_b32 s5, s6, s7
	s_delay_alu instid0(SALU_CYCLE_1)
	v_add_co_ci_u32_e64 v27, null, 0, v27, s5
	s_or_b32 exec_lo, exec_lo, s10
	s_and_saveexec_b32 s9, s4
	s_cbranch_execz .LBB12_21
.LBB12_29:                              ;   in Loop: Header=BB12_3 Depth=1
	s_wait_loadcnt 0x1
	v_cmp_u_f32_e64 s4, v12, v12
	s_wait_loadcnt 0x0
	s_wait_kmcnt 0x0
	v_cmp_eq_u32_e64 s5, s33, v20
	v_cmp_gt_f32_e64 s6, s19, v12
	v_cmp_lt_i32_e64 s8, 0, v20
	v_cmp_eq_f32_e64 s7, s19, v12
	v_add_co_ci_u32_e64 v26, null, 0, v26, s4
	v_cmp_lt_i32_e64 s4, s33, v20
	s_delay_alu instid0(VALU_DEP_4) | instskip(SKIP_4) | instid1(SALU_CYCLE_1)
	v_add_co_ci_u32_e64 v2, null, 0, v2, s8
	s_and_b32 s8, s5, s6
	v_cmp_gt_i32_e64 s6, s18, v8
	s_and_b32 s5, s5, s7
	s_or_b32 s4, s4, s8
	v_add_co_ci_u32_e64 v28, null, 0, v28, s4
	s_and_b32 s4, s5, s6
	s_delay_alu instid0(SALU_CYCLE_1)
	v_add_co_ci_u32_e64 v27, null, 0, v27, s4
	s_or_b32 exec_lo, exec_lo, s9
	s_and_saveexec_b32 s8, s3
	s_cbranch_execz .LBB12_22
.LBB12_30:                              ;   in Loop: Header=BB12_3 Depth=1
	s_wait_loadcnt 0x1
	v_cmp_u_f32_e64 s3, v11, v11
	s_wait_loadcnt 0x0
	s_wait_kmcnt 0x0
	v_cmp_eq_u32_e64 s4, s33, v21
	v_cmp_gt_f32_e64 s5, s19, v11
	v_cmp_lt_i32_e64 s7, 0, v21
	v_cmp_eq_f32_e64 s6, s19, v11
	v_add_co_ci_u32_e64 v26, null, 0, v26, s3
	v_cmp_lt_i32_e64 s3, s33, v21
	s_delay_alu instid0(VALU_DEP_4) | instskip(SKIP_4) | instid1(SALU_CYCLE_1)
	v_add_co_ci_u32_e64 v2, null, 0, v2, s7
	s_and_b32 s7, s4, s5
	v_cmp_gt_i32_e64 s5, s18, v7
	s_and_b32 s4, s4, s6
	s_or_b32 s3, s3, s7
	v_add_co_ci_u32_e64 v28, null, 0, v28, s3
	s_and_b32 s3, s4, s5
	s_delay_alu instid0(SALU_CYCLE_1)
	v_add_co_ci_u32_e64 v27, null, 0, v27, s3
	s_or_b32 exec_lo, exec_lo, s8
	s_and_saveexec_b32 s7, s2
	s_cbranch_execz .LBB12_23
.LBB12_31:                              ;   in Loop: Header=BB12_3 Depth=1
	s_wait_loadcnt 0x1
	v_cmp_u_f32_e64 s2, v14, v14
	s_wait_loadcnt 0x0
	s_wait_kmcnt 0x0
	v_cmp_eq_u32_e64 s3, s33, v22
	v_cmp_gt_f32_e64 s4, s19, v14
	v_cmp_lt_i32_e64 s6, 0, v22
	v_cmp_eq_f32_e64 s5, s19, v14
	v_add_co_ci_u32_e64 v26, null, 0, v26, s2
	v_cmp_lt_i32_e64 s2, s33, v22
	s_delay_alu instid0(VALU_DEP_4) | instskip(SKIP_4) | instid1(SALU_CYCLE_1)
	v_add_co_ci_u32_e64 v2, null, 0, v2, s6
	s_and_b32 s6, s3, s4
	v_cmp_gt_i32_e64 s4, s18, v6
	s_and_b32 s3, s3, s5
	s_or_b32 s2, s2, s6
	v_add_co_ci_u32_e64 v28, null, 0, v28, s2
	s_and_b32 s2, s3, s4
	s_delay_alu instid0(SALU_CYCLE_1)
	v_add_co_ci_u32_e64 v27, null, 0, v27, s2
	s_or_b32 exec_lo, exec_lo, s7
	s_and_saveexec_b32 s6, s1
	s_cbranch_execz .LBB12_24
.LBB12_32:                              ;   in Loop: Header=BB12_3 Depth=1
	s_wait_loadcnt 0x1
	v_cmp_u_f32_e64 s1, v13, v13
	s_wait_loadcnt 0x0
	s_wait_kmcnt 0x0
	v_cmp_eq_u32_e64 s2, s33, v23
	v_cmp_gt_f32_e64 s3, s19, v13
	v_cmp_lt_i32_e64 s5, 0, v23
	v_cmp_eq_f32_e64 s4, s19, v13
	v_add_co_ci_u32_e64 v26, null, 0, v26, s1
	v_cmp_lt_i32_e64 s1, s33, v23
	s_delay_alu instid0(VALU_DEP_4) | instskip(SKIP_4) | instid1(SALU_CYCLE_1)
	v_add_co_ci_u32_e64 v2, null, 0, v2, s5
	s_and_b32 s5, s2, s3
	v_cmp_gt_i32_e64 s3, s18, v5
	s_and_b32 s2, s2, s4
	s_or_b32 s1, s1, s5
	v_add_co_ci_u32_e64 v28, null, 0, v28, s1
	s_and_b32 s1, s2, s3
	s_delay_alu instid0(SALU_CYCLE_1)
	v_add_co_ci_u32_e64 v27, null, 0, v27, s1
	s_or_b32 exec_lo, exec_lo, s6
	s_and_saveexec_b32 s5, s0
	s_cbranch_execz .LBB12_25
.LBB12_33:                              ;   in Loop: Header=BB12_3 Depth=1
	s_wait_loadcnt 0x1
	v_cmp_u_f32_e64 s0, v16, v16
	s_wait_loadcnt 0x0
	s_wait_kmcnt 0x0
	v_cmp_eq_u32_e64 s1, s33, v24
	v_cmp_gt_f32_e64 s2, s19, v16
	v_cmp_lt_i32_e64 s4, 0, v24
	v_cmp_eq_f32_e64 s3, s19, v16
	v_add_co_ci_u32_e64 v26, null, 0, v26, s0
	v_cmp_lt_i32_e64 s0, s33, v24
	s_delay_alu instid0(VALU_DEP_4) | instskip(SKIP_4) | instid1(SALU_CYCLE_1)
	v_add_co_ci_u32_e64 v2, null, 0, v2, s4
	s_and_b32 s4, s1, s2
	v_cmp_gt_i32_e64 s2, s18, v4
	s_and_b32 s1, s1, s3
	s_or_b32 s0, s0, s4
	v_add_co_ci_u32_e64 v28, null, 0, v28, s0
	s_and_b32 s0, s1, s2
	s_delay_alu instid0(SALU_CYCLE_1)
	v_add_co_ci_u32_e64 v27, null, 0, v27, s0
	s_or_b32 exec_lo, exec_lo, s5
	s_and_saveexec_b32 s4, vcc_lo
	s_cbranch_execz .LBB12_2
.LBB12_34:                              ;   in Loop: Header=BB12_3 Depth=1
	s_wait_loadcnt 0x1
	v_cmp_u_f32_e32 vcc_lo, v15, v15
	s_wait_loadcnt 0x0
	s_wait_kmcnt 0x0
	v_cmp_eq_u32_e64 s0, s33, v25
	v_cmp_gt_f32_e64 s1, s19, v15
	v_cmp_lt_i32_e64 s3, 0, v25
	v_cmp_eq_f32_e64 s2, s19, v15
	v_add_co_ci_u32_e64 v26, null, 0, v26, vcc_lo
	v_cmp_lt_i32_e32 vcc_lo, s33, v25
	s_delay_alu instid0(VALU_DEP_4) | instskip(SKIP_4) | instid1(SALU_CYCLE_1)
	v_add_co_ci_u32_e64 v2, null, 0, v2, s3
	s_and_b32 s3, s0, s1
	v_cmp_gt_i32_e64 s1, s18, v3
	s_and_b32 s0, s0, s2
	s_or_b32 vcc_lo, vcc_lo, s3
	v_add_co_ci_u32_e64 v28, null, 0, v28, vcc_lo
	s_and_b32 vcc_lo, s0, s1
	s_delay_alu instid0(SALU_CYCLE_1)
	v_add_co_ci_u32_e64 v27, null, 0, v27, vcc_lo
	s_branch .LBB12_2
.LBB12_35:
	s_wait_loadcnt 0x1
	v_add_nc_u32_e32 v1, v27, v28
	v_cmp_eq_u32_e64 s0, 0, v26
.LBB12_36:
	v_lshlrev_b32_e32 v3, 2, v0
	s_cmp_lt_u32 s28, 2
	ds_store_2addr_stride64_b32 v3, v2, v1 offset1:8
	s_cbranch_scc1 .LBB12_42
; %bb.37:
	v_or_b32_e32 v4, 0x800, v3
.LBB12_38:                              ; =>This Inner Loop Header: Depth=1
	s_lshr_b32 s1, s28, 1
	s_mov_b32 s2, exec_lo
	s_wait_loadcnt_dscnt 0x0
	s_barrier_signal -1
	s_barrier_wait -1
	v_cmpx_gt_u32_e64 s1, v0
	s_cbranch_execz .LBB12_40
; %bb.39:                               ;   in Loop: Header=BB12_38 Depth=1
	s_lshl_b32 s3, s1, 2
	s_delay_alu instid0(SALU_CYCLE_1)
	v_dual_add_nc_u32 v5, s3, v4 :: v_dual_add_nc_u32 v6, s3, v3
	ds_load_b32 v5, v5
	ds_load_b32 v6, v6
	s_wait_dscnt 0x0
	v_dual_add_nc_u32 v1, v5, v1 :: v_dual_add_nc_u32 v2, v6, v2
	ds_store_b32 v4, v1
	ds_store_b32 v3, v2
.LBB12_40:                              ;   in Loop: Header=BB12_38 Depth=1
	s_or_b32 exec_lo, exec_lo, s2
	s_cmp_lt_u32 s28, 4
	s_cbranch_scc1 .LBB12_42
; %bb.41:                               ;   in Loop: Header=BB12_38 Depth=1
	s_mov_b32 s28, s1
	s_branch .LBB12_38
.LBB12_42:
	s_xor_b32 s2, s0, -1
	s_mul_i32 s0, s17, 10
	s_mul_i32 s4, s16, 6
	s_ashr_i32 s1, s0, 31
	s_ashr_i32 s5, s4, 31
	s_lshl_b64 s[0:1], s[0:1], 2
	s_lshl_b64 s[4:5], s[4:5], 2
	s_add_nc_u64 s[0:1], s[12:13], s[0:1]
	s_mov_b32 s3, exec_lo
	s_add_nc_u64 s[0:1], s[0:1], s[4:5]
	v_cmpx_eq_u32_e32 0, v0
	s_cbranch_execz .LBB12_44
; %bb.43:
	v_dual_mov_b32 v1, s18 :: v_dual_add_nc_u32 v0, s11, v1
	s_wait_kmcnt 0x0
	v_mov_b32_e32 v3, s19
	s_clause 0x2
	global_store_b32 v0, v2, s[20:21] scale_offset
	global_store_b32 v0, v1, s[22:23] scale_offset
	global_store_b32 v0, v3, s[0:1] scale_offset
.LBB12_44:
	s_wait_xcnt 0x0
	s_or_b32 exec_lo, exec_lo, s3
	s_wait_storecnt 0x0
	s_wait_loadcnt_dscnt 0x0
	s_barrier_signal -1
	s_barrier_wait -1
	s_and_saveexec_b32 s3, s2
	s_cbranch_execz .LBB12_46
; %bb.45:
	v_dual_mov_b32 v0, 0 :: v_dual_mov_b32 v1, 0x7fc00000
	s_add_nc_u64 s[0:1], s[0:1], s[14:15]
	global_store_b32 v0, v1, s[0:1]
.LBB12_46:
	s_endpgm
	.section	.rodata,"a",@progbits
	.p2align	6, 0x0
	.amdhsa_kernel _ZN9rocsolver6v33100L31stedc_mergePrepare_SortD_kernelIfEEviiPT_lS3_Pi
		.amdhsa_group_segment_fixed_size 4096
		.amdhsa_private_segment_fixed_size 0
		.amdhsa_kernarg_size 296
		.amdhsa_user_sgpr_count 2
		.amdhsa_user_sgpr_dispatch_ptr 0
		.amdhsa_user_sgpr_queue_ptr 0
		.amdhsa_user_sgpr_kernarg_segment_ptr 1
		.amdhsa_user_sgpr_dispatch_id 0
		.amdhsa_user_sgpr_kernarg_preload_length 0
		.amdhsa_user_sgpr_kernarg_preload_offset 0
		.amdhsa_user_sgpr_private_segment_size 0
		.amdhsa_wavefront_size32 1
		.amdhsa_uses_dynamic_stack 0
		.amdhsa_enable_private_segment 0
		.amdhsa_system_sgpr_workgroup_id_x 1
		.amdhsa_system_sgpr_workgroup_id_y 1
		.amdhsa_system_sgpr_workgroup_id_z 0
		.amdhsa_system_sgpr_workgroup_info 0
		.amdhsa_system_vgpr_workitem_id 0
		.amdhsa_next_free_vgpr 30
		.amdhsa_next_free_sgpr 42
		.amdhsa_named_barrier_count 0
		.amdhsa_reserve_vcc 1
		.amdhsa_float_round_mode_32 0
		.amdhsa_float_round_mode_16_64 0
		.amdhsa_float_denorm_mode_32 3
		.amdhsa_float_denorm_mode_16_64 3
		.amdhsa_fp16_overflow 0
		.amdhsa_memory_ordered 1
		.amdhsa_forward_progress 1
		.amdhsa_inst_pref_size 21
		.amdhsa_round_robin_scheduling 0
		.amdhsa_exception_fp_ieee_invalid_op 0
		.amdhsa_exception_fp_denorm_src 0
		.amdhsa_exception_fp_ieee_div_zero 0
		.amdhsa_exception_fp_ieee_overflow 0
		.amdhsa_exception_fp_ieee_underflow 0
		.amdhsa_exception_fp_ieee_inexact 0
		.amdhsa_exception_int_div_zero 0
	.end_amdhsa_kernel
	.section	.text._ZN9rocsolver6v33100L31stedc_mergePrepare_SortD_kernelIfEEviiPT_lS3_Pi,"axG",@progbits,_ZN9rocsolver6v33100L31stedc_mergePrepare_SortD_kernelIfEEviiPT_lS3_Pi,comdat
.Lfunc_end12:
	.size	_ZN9rocsolver6v33100L31stedc_mergePrepare_SortD_kernelIfEEviiPT_lS3_Pi, .Lfunc_end12-_ZN9rocsolver6v33100L31stedc_mergePrepare_SortD_kernelIfEEviiPT_lS3_Pi
                                        ; -- End function
	.set _ZN9rocsolver6v33100L31stedc_mergePrepare_SortD_kernelIfEEviiPT_lS3_Pi.num_vgpr, 30
	.set _ZN9rocsolver6v33100L31stedc_mergePrepare_SortD_kernelIfEEviiPT_lS3_Pi.num_agpr, 0
	.set _ZN9rocsolver6v33100L31stedc_mergePrepare_SortD_kernelIfEEviiPT_lS3_Pi.numbered_sgpr, 42
	.set _ZN9rocsolver6v33100L31stedc_mergePrepare_SortD_kernelIfEEviiPT_lS3_Pi.num_named_barrier, 0
	.set _ZN9rocsolver6v33100L31stedc_mergePrepare_SortD_kernelIfEEviiPT_lS3_Pi.private_seg_size, 0
	.set _ZN9rocsolver6v33100L31stedc_mergePrepare_SortD_kernelIfEEviiPT_lS3_Pi.uses_vcc, 1
	.set _ZN9rocsolver6v33100L31stedc_mergePrepare_SortD_kernelIfEEviiPT_lS3_Pi.uses_flat_scratch, 0
	.set _ZN9rocsolver6v33100L31stedc_mergePrepare_SortD_kernelIfEEviiPT_lS3_Pi.has_dyn_sized_stack, 0
	.set _ZN9rocsolver6v33100L31stedc_mergePrepare_SortD_kernelIfEEviiPT_lS3_Pi.has_recursion, 0
	.set _ZN9rocsolver6v33100L31stedc_mergePrepare_SortD_kernelIfEEviiPT_lS3_Pi.has_indirect_call, 0
	.section	.AMDGPU.csdata,"",@progbits
; Kernel info:
; codeLenInByte = 2684
; TotalNumSgprs: 44
; NumVgprs: 30
; ScratchSize: 0
; MemoryBound: 0
; FloatMode: 240
; IeeeMode: 1
; LDSByteSize: 4096 bytes/workgroup (compile time only)
; SGPRBlocks: 0
; VGPRBlocks: 1
; NumSGPRsForWavesPerEU: 44
; NumVGPRsForWavesPerEU: 30
; NamedBarCnt: 0
; Occupancy: 16
; WaveLimiterHint : 1
; COMPUTE_PGM_RSRC2:SCRATCH_EN: 0
; COMPUTE_PGM_RSRC2:USER_SGPR: 2
; COMPUTE_PGM_RSRC2:TRAP_HANDLER: 0
; COMPUTE_PGM_RSRC2:TGID_X_EN: 1
; COMPUTE_PGM_RSRC2:TGID_Y_EN: 1
; COMPUTE_PGM_RSRC2:TGID_Z_EN: 0
; COMPUTE_PGM_RSRC2:TIDIG_COMP_CNT: 0
	.section	.text._ZN9rocsolver6v33100L38stedc_mergePrepare_SetCandFlags_kernelIfEEviiPT_lS3_Pi,"axG",@progbits,_ZN9rocsolver6v33100L38stedc_mergePrepare_SetCandFlags_kernelIfEEviiPT_lS3_Pi,comdat
	.globl	_ZN9rocsolver6v33100L38stedc_mergePrepare_SetCandFlags_kernelIfEEviiPT_lS3_Pi ; -- Begin function _ZN9rocsolver6v33100L38stedc_mergePrepare_SetCandFlags_kernelIfEEviiPT_lS3_Pi
	.p2align	8
	.type	_ZN9rocsolver6v33100L38stedc_mergePrepare_SetCandFlags_kernelIfEEviiPT_lS3_Pi,@function
_ZN9rocsolver6v33100L38stedc_mergePrepare_SetCandFlags_kernelIfEEviiPT_lS3_Pi: ; @_ZN9rocsolver6v33100L38stedc_mergePrepare_SetCandFlags_kernelIfEEviiPT_lS3_Pi
; %bb.0:
	s_clause 0x1
	s_load_b32 s4, s[0:1], 0x34
	s_load_b32 s2, s[0:1], 0x4
	s_bfe_u32 s3, ttmp6, 0x4000c
	s_and_b32 s5, ttmp6, 15
	s_add_co_i32 s6, s3, 1
	s_getreg_b32 s3, hwreg(HW_REG_IB_STS2, 6, 4)
	s_mul_i32 s6, ttmp9, s6
	s_delay_alu instid0(SALU_CYCLE_1) | instskip(SKIP_4) | instid1(SALU_CYCLE_1)
	s_add_co_i32 s5, s5, s6
	s_wait_kmcnt 0x0
	s_and_b32 s4, s4, 0xffff
	s_cmp_eq_u32 s3, 0
	s_cselect_b32 s5, ttmp9, s5
	v_mad_u32 v0, s5, s4, v0
	s_mov_b32 s4, exec_lo
	s_delay_alu instid0(VALU_DEP_1)
	v_cmpx_gt_i32_e64 s2, v0
	s_cbranch_execz .LBB13_6
; %bb.1:
	s_load_b128 s[4:7], s[0:1], 0x18
	s_bfe_u32 s8, ttmp6, 0x40010
	s_wait_xcnt 0x0
	s_bfe_u32 s0, ttmp6, 0x40004
	s_add_co_i32 s8, s8, 1
	s_delay_alu instid0(SALU_CYCLE_1) | instskip(NEXT) | instid1(SALU_CYCLE_1)
	s_mul_i32 s1, ttmp7, s8
	s_add_co_i32 s1, s0, s1
	s_cmp_eq_u32 s3, 0
	s_mul_i32 s0, s2, 6
	s_cselect_b32 s8, ttmp7, s1
	s_ashr_i32 s1, s0, 31
	s_mul_i32 s14, s2, s8
	s_ashr_i32 s3, s2, 31
	s_mul_i32 s10, s14, 13
	s_mul_i32 s14, s14, 10
	s_ashr_i32 s11, s10, 31
	s_lshl_b64 s[0:1], s[0:1], 2
	s_lshl_b64 s[10:11], s[10:11], 2
	s_ashr_i32 s15, s14, 31
	s_wait_kmcnt 0x0
	s_add_nc_u64 s[6:7], s[6:7], s[10:11]
	s_mul_u64 s[8:9], s[2:3], 20
	s_lshl_b64 s[12:13], s[2:3], 4
	s_lshl_b64 s[10:11], s[14:15], 2
	s_add_nc_u64 s[0:1], s[6:7], s[0:1]
	s_add_nc_u64 s[6:7], s[4:5], s[10:11]
	;; [unrolled: 1-line block ×3, first 2 shown]
	s_sub_nc_u64 s[10:11], 0, s[12:13]
	s_lshl_b32 s8, s2, 2
	s_add_nc_u64 s[10:11], s[4:5], s[10:11]
	s_clause 0x1
	global_load_b32 v2, v0, s[0:1] scale_offset
	global_load_b32 v3, v0, s[10:11] scale_offset
	v_max_i32_e32 v1, 1, v0
	s_ashr_i32 s9, s8, 31
	s_delay_alu instid0(SALU_CYCLE_1) | instskip(NEXT) | instid1(SALU_CYCLE_1)
	s_lshl_b64 s[8:9], s[8:9], 2
	s_add_nc_u64 s[8:9], s[6:7], s[8:9]
	s_lshl_b64 s[6:7], s[2:3], 3
	s_delay_alu instid0(SALU_CYCLE_1)
	s_add_nc_u64 s[6:7], s[8:9], s[6:7]
	s_wait_loadcnt 0x1
	v_dual_sub_nc_u32 v8, v0, v2 :: v_dual_add_nc_u32 v1, -1, v1
	s_wait_loadcnt 0x0
	v_add_nc_u32_e32 v9, -1, v3
	s_clause 0x3
	global_load_b32 v4, v0, s[8:9] scale_offset
	global_load_b32 v5, v0, s[6:7] scale_offset
	global_load_b32 v7, v1, s[6:7] scale_offset
	global_load_b32 v6, v1, s[0:1] scale_offset
	s_wait_xcnt 0x0
	v_ashrrev_i32_e32 v1, 31, v0
	v_cmp_lt_i32_e32 vcc_lo, v8, v9
	v_mov_b32_e32 v9, 0
	s_and_saveexec_b32 s3, vcc_lo
	s_cbranch_execz .LBB13_5
; %bb.2:
	v_add_nc_u32_e32 v9, 1, v0
	s_delay_alu instid0(VALU_DEP_1)
	v_cmp_gt_i32_e32 vcc_lo, s2, v9
	v_cndmask_b32_e32 v9, v0, v9, vcc_lo
	s_clause 0x1
	global_load_b32 v10, v9, s[6:7] scale_offset
	global_load_b32 v11, v9, s[0:1] scale_offset
	s_wait_loadcnt 0x1
	s_wait_xcnt 0x0
	v_sub_f32_e32 v9, v5, v10
	s_wait_loadcnt 0x0
	v_cmp_eq_u32_e32 vcc_lo, v2, v11
	s_delay_alu instid0(VALU_DEP_2) | instskip(SKIP_2) | instid1(SALU_CYCLE_1)
	v_cmp_le_f32_e64 s0, |v9|, v4
	v_mov_b32_e32 v9, 0
	s_and_b32 s1, vcc_lo, s0
	s_and_saveexec_b32 s0, s1
; %bb.3:
	s_add_co_i32 s1, s2, -1
	s_delay_alu instid0(SALU_CYCLE_1)
	v_cmp_ne_u32_e32 vcc_lo, s1, v0
	v_cndmask_b32_e64 v9, 0, 1, vcc_lo
; %bb.4:
	s_or_b32 exec_lo, exec_lo, s0
.LBB13_5:
	s_delay_alu instid0(SALU_CYCLE_1)
	s_or_b32 exec_lo, exec_lo, s3
	s_wait_loadcnt 0x1
	v_sub_f32_e32 v5, v5, v7
	v_cmp_lt_i32_e64 s1, 0, v0
	v_cmp_ge_i32_e32 vcc_lo, v8, v3
	s_wait_loadcnt 0x0
	v_cmp_ne_u32_e64 s0, v2, v6
	v_lshl_add_u64 v[0:1], v[0:1], 2, s[4:5]
	v_cmp_nle_f32_e64 s2, |v5|, v4
	v_cndmask_b32_e64 v2, 0, 2, s1
	s_or_b32 s0, vcc_lo, s0
	s_delay_alu instid0(SALU_CYCLE_1)
	s_or_b32 s0, s0, s2
	s_delay_alu instid0(VALU_DEP_1) | instid1(SALU_CYCLE_1)
	v_cndmask_b32_e64 v2, v2, 0, s0
	s_delay_alu instid0(VALU_DEP_1)
	v_or_b32_e32 v2, v9, v2
	global_store_b32 v[0:1], v2, off
.LBB13_6:
	s_endpgm
	.section	.rodata,"a",@progbits
	.p2align	6, 0x0
	.amdhsa_kernel _ZN9rocsolver6v33100L38stedc_mergePrepare_SetCandFlags_kernelIfEEviiPT_lS3_Pi
		.amdhsa_group_segment_fixed_size 0
		.amdhsa_private_segment_fixed_size 0
		.amdhsa_kernarg_size 296
		.amdhsa_user_sgpr_count 2
		.amdhsa_user_sgpr_dispatch_ptr 0
		.amdhsa_user_sgpr_queue_ptr 0
		.amdhsa_user_sgpr_kernarg_segment_ptr 1
		.amdhsa_user_sgpr_dispatch_id 0
		.amdhsa_user_sgpr_kernarg_preload_length 0
		.amdhsa_user_sgpr_kernarg_preload_offset 0
		.amdhsa_user_sgpr_private_segment_size 0
		.amdhsa_wavefront_size32 1
		.amdhsa_uses_dynamic_stack 0
		.amdhsa_enable_private_segment 0
		.amdhsa_system_sgpr_workgroup_id_x 1
		.amdhsa_system_sgpr_workgroup_id_y 1
		.amdhsa_system_sgpr_workgroup_id_z 0
		.amdhsa_system_sgpr_workgroup_info 0
		.amdhsa_system_vgpr_workitem_id 0
		.amdhsa_next_free_vgpr 12
		.amdhsa_next_free_sgpr 16
		.amdhsa_named_barrier_count 0
		.amdhsa_reserve_vcc 1
		.amdhsa_float_round_mode_32 0
		.amdhsa_float_round_mode_16_64 0
		.amdhsa_float_denorm_mode_32 3
		.amdhsa_float_denorm_mode_16_64 3
		.amdhsa_fp16_overflow 0
		.amdhsa_memory_ordered 1
		.amdhsa_forward_progress 1
		.amdhsa_inst_pref_size 5
		.amdhsa_round_robin_scheduling 0
		.amdhsa_exception_fp_ieee_invalid_op 0
		.amdhsa_exception_fp_denorm_src 0
		.amdhsa_exception_fp_ieee_div_zero 0
		.amdhsa_exception_fp_ieee_overflow 0
		.amdhsa_exception_fp_ieee_underflow 0
		.amdhsa_exception_fp_ieee_inexact 0
		.amdhsa_exception_int_div_zero 0
	.end_amdhsa_kernel
	.section	.text._ZN9rocsolver6v33100L38stedc_mergePrepare_SetCandFlags_kernelIfEEviiPT_lS3_Pi,"axG",@progbits,_ZN9rocsolver6v33100L38stedc_mergePrepare_SetCandFlags_kernelIfEEviiPT_lS3_Pi,comdat
.Lfunc_end13:
	.size	_ZN9rocsolver6v33100L38stedc_mergePrepare_SetCandFlags_kernelIfEEviiPT_lS3_Pi, .Lfunc_end13-_ZN9rocsolver6v33100L38stedc_mergePrepare_SetCandFlags_kernelIfEEviiPT_lS3_Pi
                                        ; -- End function
	.set _ZN9rocsolver6v33100L38stedc_mergePrepare_SetCandFlags_kernelIfEEviiPT_lS3_Pi.num_vgpr, 12
	.set _ZN9rocsolver6v33100L38stedc_mergePrepare_SetCandFlags_kernelIfEEviiPT_lS3_Pi.num_agpr, 0
	.set _ZN9rocsolver6v33100L38stedc_mergePrepare_SetCandFlags_kernelIfEEviiPT_lS3_Pi.numbered_sgpr, 16
	.set _ZN9rocsolver6v33100L38stedc_mergePrepare_SetCandFlags_kernelIfEEviiPT_lS3_Pi.num_named_barrier, 0
	.set _ZN9rocsolver6v33100L38stedc_mergePrepare_SetCandFlags_kernelIfEEviiPT_lS3_Pi.private_seg_size, 0
	.set _ZN9rocsolver6v33100L38stedc_mergePrepare_SetCandFlags_kernelIfEEviiPT_lS3_Pi.uses_vcc, 1
	.set _ZN9rocsolver6v33100L38stedc_mergePrepare_SetCandFlags_kernelIfEEviiPT_lS3_Pi.uses_flat_scratch, 0
	.set _ZN9rocsolver6v33100L38stedc_mergePrepare_SetCandFlags_kernelIfEEviiPT_lS3_Pi.has_dyn_sized_stack, 0
	.set _ZN9rocsolver6v33100L38stedc_mergePrepare_SetCandFlags_kernelIfEEviiPT_lS3_Pi.has_recursion, 0
	.set _ZN9rocsolver6v33100L38stedc_mergePrepare_SetCandFlags_kernelIfEEviiPT_lS3_Pi.has_indirect_call, 0
	.section	.AMDGPU.csdata,"",@progbits
; Kernel info:
; codeLenInByte = 620
; TotalNumSgprs: 18
; NumVgprs: 12
; ScratchSize: 0
; MemoryBound: 0
; FloatMode: 240
; IeeeMode: 1
; LDSByteSize: 0 bytes/workgroup (compile time only)
; SGPRBlocks: 0
; VGPRBlocks: 0
; NumSGPRsForWavesPerEU: 18
; NumVGPRsForWavesPerEU: 12
; NamedBarCnt: 0
; Occupancy: 16
; WaveLimiterHint : 0
; COMPUTE_PGM_RSRC2:SCRATCH_EN: 0
; COMPUTE_PGM_RSRC2:USER_SGPR: 2
; COMPUTE_PGM_RSRC2:TRAP_HANDLER: 0
; COMPUTE_PGM_RSRC2:TGID_X_EN: 1
; COMPUTE_PGM_RSRC2:TGID_Y_EN: 1
; COMPUTE_PGM_RSRC2:TGID_Z_EN: 0
; COMPUTE_PGM_RSRC2:TIDIG_COMP_CNT: 0
	.section	.text._ZN9rocsolver6v33100L38stedc_mergePrepare_DeflateCount_kernelIfEEviiPT_lS3_Pi,"axG",@progbits,_ZN9rocsolver6v33100L38stedc_mergePrepare_DeflateCount_kernelIfEEviiPT_lS3_Pi,comdat
	.globl	_ZN9rocsolver6v33100L38stedc_mergePrepare_DeflateCount_kernelIfEEviiPT_lS3_Pi ; -- Begin function _ZN9rocsolver6v33100L38stedc_mergePrepare_DeflateCount_kernelIfEEviiPT_lS3_Pi
	.p2align	8
	.type	_ZN9rocsolver6v33100L38stedc_mergePrepare_DeflateCount_kernelIfEEviiPT_lS3_Pi,@function
_ZN9rocsolver6v33100L38stedc_mergePrepare_DeflateCount_kernelIfEEviiPT_lS3_Pi: ; @_ZN9rocsolver6v33100L38stedc_mergePrepare_DeflateCount_kernelIfEEviiPT_lS3_Pi
; %bb.0:
	s_clause 0x2
	s_load_b32 s2, s[0:1], 0x4
	s_load_b32 s3, s[0:1], 0x34
	s_load_b128 s[4:7], s[0:1], 0x18
	s_wait_xcnt 0x0
	s_bfe_u32 s1, ttmp6, 0x4000c
	s_bfe_u32 s8, ttmp6, 0x40010
	s_add_co_i32 s1, s1, 1
	s_add_co_i32 s8, s8, 1
	s_and_b32 s0, ttmp6, 15
	s_bfe_u32 s9, ttmp6, 0x40004
	s_mul_i32 s1, ttmp9, s1
	s_mul_i32 s8, ttmp7, s8
	s_getreg_b32 s10, hwreg(HW_REG_IB_STS2, 6, 4)
	s_add_co_i32 s0, s0, s1
	s_add_co_i32 s9, s9, s8
	s_cmp_eq_u32 s10, 0
	s_mov_b32 s24, -1
	s_cselect_b32 s1, ttmp7, s9
	s_cselect_b32 s22, ttmp9, s0
	s_wait_kmcnt 0x0
	s_mul_i32 s18, s2, s1
	s_and_b32 s23, s3, 0xffff
	s_mul_i32 s0, s18, 13
	s_mul_i32 s22, s22, s23
	s_ashr_i32 s1, s0, 31
	v_add_nc_u32_e32 v2, s22, v0
	s_lshl_b64 s[10:11], s[0:1], 2
	s_mul_i32 s0, s2, 9
	s_add_nc_u64 s[8:9], s[6:7], s[10:11]
	s_ashr_i32 s1, s0, 31
	s_ashr_i32 s3, s2, 31
	s_lshl_b64 s[12:13], s[0:1], 2
	v_max_i32_e32 v1, 1, v2
	s_add_nc_u64 s[8:9], s[8:9], s[12:13]
	s_lshl_b64 s[14:15], s[2:3], 3
	s_mov_b32 s3, 0
	s_add_nc_u64 s[16:17], s[8:9], s[14:15]
	s_mov_b32 s0, exec_lo
	v_cmpx_ge_i32_e64 s2, v1
	s_cbranch_execz .LBB14_2
; %bb.1:
	global_load_b32 v1, v1, s[16:17] offset:-4 scale_offset
	s_wait_loadcnt 0x0
	v_and_b32_e32 v1, 1, v1
	s_delay_alu instid0(VALU_DEP_1)
	v_cmp_eq_u32_e32 vcc_lo, 0, v1
	s_or_not1_b32 s24, vcc_lo, exec_lo
.LBB14_2:
	s_or_b32 exec_lo, exec_lo, s0
	v_cmp_gt_i32_e64 s0, s2, v2
	v_cmp_le_i32_e32 vcc_lo, s2, v2
	s_and_saveexec_b32 s19, s0
	s_cbranch_execz .LBB14_4
; %bb.3:
	global_load_b32 v1, v2, s[16:17] scale_offset
	s_wait_loadcnt 0x0
	v_and_b32_e32 v1, 1, v1
	s_delay_alu instid0(VALU_DEP_1)
	v_cmp_eq_u32_e64 s1, 1, v1
	s_and_b32 s3, s1, exec_lo
.LBB14_4:
	s_or_b32 exec_lo, exec_lo, s19
	s_mul_i32 s16, s18, 10
	s_mul_i32 s18, s2, 6
	s_ashr_i32 s17, s16, 31
	s_ashr_i32 s19, s18, 31
	s_lshl_b64 s[16:17], s[16:17], 2
	v_mov_b32_e32 v1, 0
	s_add_nc_u64 s[20:21], s[4:5], s[16:17]
	s_lshl_b64 s[18:19], s[18:19], 2
	s_delay_alu instid0(SALU_CYCLE_1)
	s_add_nc_u64 s[20:21], s[20:21], s[18:19]
	s_and_saveexec_b32 s1, s0
	s_cbranch_execz .LBB14_6
; %bb.5:
	global_load_b32 v1, v2, s[20:21] scale_offset
.LBB14_6:
	s_wait_xcnt 0x0
	s_or_b32 exec_lo, exec_lo, s1
	v_ashrrev_i32_e32 v3, 31, v2
	s_and_saveexec_b32 s0, vcc_lo
	s_delay_alu instid0(SALU_CYCLE_1) | instskip(NEXT) | instid1(SALU_CYCLE_1)
	s_xor_b32 s0, exec_lo, s0
	s_or_saveexec_b32 s0, s0
	v_mov_b32_e32 v8, 0
	s_xor_b32 exec_lo, exec_lo, s0
	s_cbranch_execz .LBB14_8
; %bb.7:
	s_sub_nc_u64 s[26:27], 0, s[14:15]
	s_delay_alu instid0(SALU_CYCLE_1)
	s_add_nc_u64 s[20:21], s[20:21], s[26:27]
	global_load_b32 v8, v2, s[20:21] scale_offset
.LBB14_8:
	s_wait_xcnt 0x0
	s_or_b32 exec_lo, exec_lo, s0
	v_lshlrev_b64_e32 v[6:7], 2, v[2:3]
	s_add_nc_u64 s[10:11], s[14:15], s[10:11]
	v_dual_lshlrev_b32 v9, 2, v0 :: v_dual_mov_b32 v11, v0
	s_add_nc_u64 s[10:11], s[10:11], s[12:13]
	s_add_nc_u64 s[12:13], s[16:17], s[18:19]
	;; [unrolled: 1-line block ×4, first 2 shown]
	v_add_nc_u64_e32 v[4:5], s[6:7], v[6:7]
	v_add_nc_u64_e32 v[6:7], s[4:5], v[6:7]
	v_mov_b32_e32 v10, v9
	s_mov_b32 s1, 0
	s_lshl_b32 s0, s23, 2
	s_mov_b64 s[10:11], 0
	s_mov_b32 s12, s1
	s_branch .LBB14_10
.LBB14_9:                               ;   in Loop: Header=BB14_10 Depth=1
	s_wait_xcnt 0x0
	s_or_b32 exec_lo, exec_lo, s13
	v_add_nc_u32_e32 v11, s23, v11
	s_wait_loadcnt 0x0
	ds_store_2addr_stride64_b32 v10, v13, v12 offset1:64
	v_add_nc_u32_e32 v10, s0, v10
	s_add_nc_u64 s[10:11], s[10:11], s[0:1]
	v_cmp_lt_u32_e32 vcc_lo, 0xfff, v11
	s_or_b32 s12, vcc_lo, s12
	s_delay_alu instid0(SALU_CYCLE_1)
	s_and_not1_b32 exec_lo, exec_lo, s12
	s_cbranch_execz .LBB14_12
.LBB14_10:                              ; =>This Inner Loop Header: Depth=1
	v_dual_mov_b32 v12, 0 :: v_dual_add_nc_u32 v13, s22, v11
	s_delay_alu instid0(VALU_DEP_1)
	v_cmp_gt_i32_e32 vcc_lo, s2, v13
	v_mov_b32_e32 v13, 0
	s_and_saveexec_b32 s13, vcc_lo
	s_cbranch_execz .LBB14_9
; %bb.11:                               ;   in Loop: Header=BB14_10 Depth=1
	v_add_nc_u64_e32 v[14:15], s[10:11], v[6:7]
	v_add_nc_u64_e32 v[16:17], s[10:11], v[4:5]
	global_load_b32 v13, v[14:15], off
	global_load_b32 v12, v[16:17], off
	s_branch .LBB14_9
.LBB14_12:
	s_or_b32 exec_lo, exec_lo, s12
	v_cmp_eq_u32_e32 vcc_lo, 0, v2
	s_wait_dscnt 0x0
	s_barrier_signal -1
	s_barrier_wait -1
	s_or_b32 s0, vcc_lo, s24
	s_delay_alu instid0(SALU_CYCLE_1) | instskip(NEXT) | instid1(SALU_CYCLE_1)
	s_and_b32 s0, s3, s0
	s_and_saveexec_b32 s1, s0
	s_cbranch_execz .LBB14_20
; %bb.13:
	v_lshlrev_b32_e32 v4, 2, v0
	ds_load_b32 v5, v4 offset:16392
	v_add_nc_u32_e32 v4, 2, v2
	s_delay_alu instid0(VALU_DEP_1) | instskip(SKIP_2) | instid1(VALU_DEP_1)
	v_cmp_gt_i32_e32 vcc_lo, s2, v4
	s_wait_dscnt 0x0
	v_and_b32_e32 v5, 2, v5
	v_cmp_ne_u32_e64 s0, 0, v5
	s_and_b32 s0, vcc_lo, s0
	s_delay_alu instid0(SALU_CYCLE_1)
	s_and_saveexec_b32 s3, s0
	s_cbranch_execz .LBB14_19
; %bb.14:
	v_ashrrev_i32_e32 v5, 31, v4
	v_add_nc_u32_e32 v3, 0x400c, v9
	s_mov_b64 s[0:1], src_shared_base
	s_delay_alu instid0(VALU_DEP_2) | instskip(NEXT) | instid1(VALU_DEP_1)
	v_lshlrev_b64_e32 v[6:7], 2, v[4:5]
	v_add_nc_u64_e32 v[4:5], s[6:7], v[6:7]
	v_add_nc_u64_e32 v[6:7], s[4:5], v[6:7]
	s_mov_b32 s4, 0
	s_delay_alu instid0(VALU_DEP_2)
	v_add_nc_u64_e32 v[4:5], 4, v[4:5]
	s_branch .LBB14_16
.LBB14_15:                              ;   in Loop: Header=BB14_16 Depth=1
	s_or_b32 exec_lo, exec_lo, s0
	v_dual_add_nc_u32 v10, 3, v0 :: v_dual_add_nc_u32 v9, 3, v9
	v_add_nc_u64_e32 v[6:7], 4, v[6:7]
	v_add_nc_u32_e32 v0, 1, v0
	s_delay_alu instid0(VALU_DEP_3)
	v_cmp_gt_i32_e32 vcc_lo, 0x1000, v10
	v_cndmask_b32_e64 v11, v5, s1, vcc_lo
	v_cndmask_b32_e32 v10, v4, v3, vcc_lo
	v_cmp_le_i32_e32 vcc_lo, s2, v9
	v_add_nc_u64_e32 v[4:5], 4, v[4:5]
	v_add_nc_u32_e32 v3, 4, v3
	flat_load_b32 v10, v[10:11]
	s_wait_loadcnt_dscnt 0x0
	v_and_b32_e32 v10, 2, v10
	s_delay_alu instid0(VALU_DEP_1) | instskip(SKIP_1) | instid1(SALU_CYCLE_1)
	v_cmp_eq_u32_e64 s0, 0, v10
	s_or_b32 s0, vcc_lo, s0
	s_and_b32 s0, exec_lo, s0
	s_delay_alu instid0(SALU_CYCLE_1) | instskip(NEXT) | instid1(SALU_CYCLE_1)
	s_or_b32 s4, s0, s4
	s_and_not1_b32 exec_lo, exec_lo, s4
	s_cbranch_execz .LBB14_18
.LBB14_16:                              ; =>This Inner Loop Header: Depth=1
	v_add_nc_u32_e32 v10, 0xffffbffc, v3
	v_add_nc_u32_e32 v9, 2, v0
	s_mov_b32 s0, exec_lo
	s_delay_alu instid0(VALU_DEP_1) | instskip(NEXT) | instid1(VALU_DEP_3)
	v_cmp_gt_i32_e32 vcc_lo, 0x1000, v9
	v_dual_cndmask_b32 v10, v6, v10 :: v_dual_add_nc_u32 v9, s22, v0
	v_cndmask_b32_e64 v11, v7, s1, vcc_lo
	flat_load_b32 v10, v[10:11]
	s_wait_loadcnt_dscnt 0x0
	s_wait_xcnt 0x0
	v_sub_f32_e32 v11, v10, v1
	s_delay_alu instid0(VALU_DEP_1)
	v_cmpx_gt_f32_e32 v11, v8
	s_cbranch_execz .LBB14_15
; %bb.17:                               ;   in Loop: Header=BB14_16 Depth=1
	v_dual_sub_nc_u32 v1, v9, v2 :: v_dual_add_nc_u32 v12, 2, v9
	s_delay_alu instid0(VALU_DEP_1)
	v_dual_add_nc_u32 v11, 1, v1 :: v_dual_mov_b32 v1, v10
	global_store_b32 v2, v11, s[8:9] scale_offset
	s_wait_xcnt 0x0
	v_mov_b32_e32 v2, v12
	s_branch .LBB14_15
.LBB14_18:
	s_or_b32 exec_lo, exec_lo, s4
	v_add3_u32 v4, s22, v0, 2
	v_ashrrev_i32_e32 v3, 31, v2
.LBB14_19:
	s_or_b32 exec_lo, exec_lo, s3
	s_delay_alu instid0(VALU_DEP_2) | instskip(NEXT) | instid1(VALU_DEP_2)
	v_xad_u32 v4, v2, -1, v4
	v_lshl_add_u64 v[0:1], v[2:3], 2, s[8:9]
	global_store_b32 v[0:1], v4, off
.LBB14_20:
	s_endpgm
	.section	.rodata,"a",@progbits
	.p2align	6, 0x0
	.amdhsa_kernel _ZN9rocsolver6v33100L38stedc_mergePrepare_DeflateCount_kernelIfEEviiPT_lS3_Pi
		.amdhsa_group_segment_fixed_size 32768
		.amdhsa_private_segment_fixed_size 0
		.amdhsa_kernarg_size 296
		.amdhsa_user_sgpr_count 2
		.amdhsa_user_sgpr_dispatch_ptr 0
		.amdhsa_user_sgpr_queue_ptr 0
		.amdhsa_user_sgpr_kernarg_segment_ptr 1
		.amdhsa_user_sgpr_dispatch_id 0
		.amdhsa_user_sgpr_kernarg_preload_length 0
		.amdhsa_user_sgpr_kernarg_preload_offset 0
		.amdhsa_user_sgpr_private_segment_size 0
		.amdhsa_wavefront_size32 1
		.amdhsa_uses_dynamic_stack 0
		.amdhsa_enable_private_segment 0
		.amdhsa_system_sgpr_workgroup_id_x 1
		.amdhsa_system_sgpr_workgroup_id_y 1
		.amdhsa_system_sgpr_workgroup_id_z 0
		.amdhsa_system_sgpr_workgroup_info 0
		.amdhsa_system_vgpr_workitem_id 0
		.amdhsa_next_free_vgpr 18
		.amdhsa_next_free_sgpr 28
		.amdhsa_named_barrier_count 0
		.amdhsa_reserve_vcc 1
		.amdhsa_float_round_mode_32 0
		.amdhsa_float_round_mode_16_64 0
		.amdhsa_float_denorm_mode_32 3
		.amdhsa_float_denorm_mode_16_64 3
		.amdhsa_fp16_overflow 0
		.amdhsa_memory_ordered 1
		.amdhsa_forward_progress 1
		.amdhsa_inst_pref_size 9
		.amdhsa_round_robin_scheduling 0
		.amdhsa_exception_fp_ieee_invalid_op 0
		.amdhsa_exception_fp_denorm_src 0
		.amdhsa_exception_fp_ieee_div_zero 0
		.amdhsa_exception_fp_ieee_overflow 0
		.amdhsa_exception_fp_ieee_underflow 0
		.amdhsa_exception_fp_ieee_inexact 0
		.amdhsa_exception_int_div_zero 0
	.end_amdhsa_kernel
	.section	.text._ZN9rocsolver6v33100L38stedc_mergePrepare_DeflateCount_kernelIfEEviiPT_lS3_Pi,"axG",@progbits,_ZN9rocsolver6v33100L38stedc_mergePrepare_DeflateCount_kernelIfEEviiPT_lS3_Pi,comdat
.Lfunc_end14:
	.size	_ZN9rocsolver6v33100L38stedc_mergePrepare_DeflateCount_kernelIfEEviiPT_lS3_Pi, .Lfunc_end14-_ZN9rocsolver6v33100L38stedc_mergePrepare_DeflateCount_kernelIfEEviiPT_lS3_Pi
                                        ; -- End function
	.set _ZN9rocsolver6v33100L38stedc_mergePrepare_DeflateCount_kernelIfEEviiPT_lS3_Pi.num_vgpr, 18
	.set _ZN9rocsolver6v33100L38stedc_mergePrepare_DeflateCount_kernelIfEEviiPT_lS3_Pi.num_agpr, 0
	.set _ZN9rocsolver6v33100L38stedc_mergePrepare_DeflateCount_kernelIfEEviiPT_lS3_Pi.numbered_sgpr, 28
	.set _ZN9rocsolver6v33100L38stedc_mergePrepare_DeflateCount_kernelIfEEviiPT_lS3_Pi.num_named_barrier, 0
	.set _ZN9rocsolver6v33100L38stedc_mergePrepare_DeflateCount_kernelIfEEviiPT_lS3_Pi.private_seg_size, 0
	.set _ZN9rocsolver6v33100L38stedc_mergePrepare_DeflateCount_kernelIfEEviiPT_lS3_Pi.uses_vcc, 1
	.set _ZN9rocsolver6v33100L38stedc_mergePrepare_DeflateCount_kernelIfEEviiPT_lS3_Pi.uses_flat_scratch, 0
	.set _ZN9rocsolver6v33100L38stedc_mergePrepare_DeflateCount_kernelIfEEviiPT_lS3_Pi.has_dyn_sized_stack, 0
	.set _ZN9rocsolver6v33100L38stedc_mergePrepare_DeflateCount_kernelIfEEviiPT_lS3_Pi.has_recursion, 0
	.set _ZN9rocsolver6v33100L38stedc_mergePrepare_DeflateCount_kernelIfEEviiPT_lS3_Pi.has_indirect_call, 0
	.section	.AMDGPU.csdata,"",@progbits
; Kernel info:
; codeLenInByte = 1060
; TotalNumSgprs: 30
; NumVgprs: 18
; ScratchSize: 0
; MemoryBound: 0
; FloatMode: 240
; IeeeMode: 1
; LDSByteSize: 32768 bytes/workgroup (compile time only)
; SGPRBlocks: 0
; VGPRBlocks: 1
; NumSGPRsForWavesPerEU: 30
; NumVGPRsForWavesPerEU: 18
; NamedBarCnt: 0
; Occupancy: 16
; WaveLimiterHint : 0
; COMPUTE_PGM_RSRC2:SCRATCH_EN: 0
; COMPUTE_PGM_RSRC2:USER_SGPR: 2
; COMPUTE_PGM_RSRC2:TRAP_HANDLER: 0
; COMPUTE_PGM_RSRC2:TGID_X_EN: 1
; COMPUTE_PGM_RSRC2:TGID_Y_EN: 1
; COMPUTE_PGM_RSRC2:TGID_Z_EN: 0
; COMPUTE_PGM_RSRC2:TIDIG_COMP_CNT: 0
	.section	.text._ZN9rocsolver6v33100L38stedc_mergePrepare_DeflateApply_kernelIfEEviiPT_lS3_Pi,"axG",@progbits,_ZN9rocsolver6v33100L38stedc_mergePrepare_DeflateApply_kernelIfEEviiPT_lS3_Pi,comdat
	.globl	_ZN9rocsolver6v33100L38stedc_mergePrepare_DeflateApply_kernelIfEEviiPT_lS3_Pi ; -- Begin function _ZN9rocsolver6v33100L38stedc_mergePrepare_DeflateApply_kernelIfEEviiPT_lS3_Pi
	.p2align	8
	.type	_ZN9rocsolver6v33100L38stedc_mergePrepare_DeflateApply_kernelIfEEviiPT_lS3_Pi,@function
_ZN9rocsolver6v33100L38stedc_mergePrepare_DeflateApply_kernelIfEEviiPT_lS3_Pi: ; @_ZN9rocsolver6v33100L38stedc_mergePrepare_DeflateApply_kernelIfEEviiPT_lS3_Pi
; %bb.0:
	s_clause 0x2
	s_load_b32 s10, s[0:1], 0x4
	s_load_b32 s2, s[0:1], 0x34
	s_load_b128 s[4:7], s[0:1], 0x18
	s_wait_xcnt 0x0
	s_bfe_u32 s1, ttmp6, 0x4000c
	s_bfe_u32 s3, ttmp6, 0x40010
	s_add_co_i32 s1, s1, 1
	s_add_co_i32 s3, s3, 1
	s_and_b32 s0, ttmp6, 15
	s_bfe_u32 s8, ttmp6, 0x40004
	s_mul_i32 s1, ttmp9, s1
	s_mul_i32 s3, ttmp7, s3
	s_getreg_b32 s9, hwreg(HW_REG_IB_STS2, 6, 4)
	s_add_co_i32 s0, s0, s1
	s_add_co_i32 s8, s8, s3
	s_cmp_eq_u32 s9, 0
	s_cselect_b32 s20, ttmp7, s8
	s_cselect_b32 s18, ttmp9, s0
	s_mov_b32 s8, exec_lo
	s_wait_kmcnt 0x0
	s_mul_i32 s20, s20, s10
	s_and_b32 s19, s2, 0xffff
	s_mul_i32 s2, s20, 13
	s_mul_i32 s18, s18, s19
	s_lshl_b32 s0, s10, 3
	v_add_nc_u32_e32 v2, s18, v0
	s_ashr_i32 s3, s2, 31
	s_ashr_i32 s1, s0, 31
	s_lshl_b64 s[14:15], s[2:3], 2
	s_lshl_b64 s[0:1], s[0:1], 2
	v_ashrrev_i32_e32 v3, 31, v2
	s_add_nc_u64 s[2:3], s[6:7], s[14:15]
	s_ashr_i32 s11, s10, 31
	s_add_nc_u64 s[2:3], s[2:3], s[0:1]
	s_lshl_b64 s[16:17], s[10:11], 3
	v_cmpx_le_i32_e64 s10, v2
	s_xor_b32 s8, exec_lo, s8
	s_delay_alu instid0(SALU_CYCLE_1)
	s_or_saveexec_b32 s21, s8
	v_mov_b32_e32 v8, 0
	s_lshl_b64 s[12:13], s[10:11], 2
	s_add_nc_u64 s[8:9], s[2:3], s[16:17]
	s_xor_b32 exec_lo, exec_lo, s21
	s_cbranch_execz .LBB15_2
; %bb.1:
	s_sub_nc_u64 s[22:23], 0, s[12:13]
	s_delay_alu instid0(SALU_CYCLE_1)
	s_add_nc_u64 s[22:23], s[8:9], s[22:23]
	global_load_b32 v8, v2, s[22:23] scale_offset
.LBB15_2:
	s_wait_xcnt 0x0
	s_or_b32 exec_lo, exec_lo, s21
	s_add_nc_u64 s[14:15], s[16:17], s[14:15]
	v_dual_lshlrev_b32 v1, 2, v0 :: v_dual_mov_b32 v5, v0
	s_add_nc_u64 s[0:1], s[14:15], s[0:1]
	s_mul_i32 s20, s20, 10
	s_add_nc_u64 s[0:1], s[6:7], s[0:1]
	s_ashr_i32 s21, s20, 31
	v_lshl_add_u64 v[2:3], v[2:3], 2, s[0:1]
	v_mov_b32_e32 v4, v1
	s_lshl_b64 s[14:15], s[20:21], 2
	s_mov_b32 s1, 0
	s_add_nc_u64 s[4:5], s[4:5], s[14:15]
	s_lshl_b32 s0, s19, 2
	s_mov_b32 s6, s1
	s_branch .LBB15_4
.LBB15_3:                               ;   in Loop: Header=BB15_4 Depth=1
	s_wait_xcnt 0x0
	s_or_b32 exec_lo, exec_lo, s7
	v_add_nc_u32_e32 v5, s19, v5
	v_add_nc_u64_e32 v[2:3], s[0:1], v[2:3]
	s_wait_loadcnt 0x0
	ds_store_2addr_stride64_b32 v4, v6, v7 offset1:64
	v_add_nc_u32_e32 v4, s0, v4
	v_cmp_lt_u32_e32 vcc_lo, 0xfff, v5
	s_or_b32 s6, vcc_lo, s6
	s_delay_alu instid0(SALU_CYCLE_1)
	s_and_not1_b32 exec_lo, exec_lo, s6
	s_cbranch_execz .LBB15_6
.LBB15_4:                               ; =>This Inner Loop Header: Depth=1
	v_dual_mov_b32 v6, 0 :: v_dual_add_nc_u32 v7, s18, v5
	s_delay_alu instid0(VALU_DEP_1)
	v_cmp_gt_i32_e32 vcc_lo, s10, v7
	v_mov_b32_e32 v7, 0
	s_and_saveexec_b32 s7, vcc_lo
	s_cbranch_execz .LBB15_3
; %bb.5:                                ;   in Loop: Header=BB15_4 Depth=1
	global_load_b32 v7, v[2:3], off
	s_wait_loadcnt 0x0
	global_load_b32 v6, v7, s[4:5] scale_offset
	s_branch .LBB15_3
.LBB15_6:
	s_or_b32 exec_lo, exec_lo, s6
	s_wait_dscnt 0x0
	s_barrier_signal -1
	s_barrier_wait -1
	s_mov_b32 s0, exec_lo
	v_cmpx_ne_u32_e32 0, v8
	s_cbranch_execz .LBB15_22
; %bb.7:
	v_lshlrev_b32_e32 v9, 2, v0
	s_mov_b32 s14, exec_lo
	ds_load_b32 v2, v9
	v_cmpx_lt_i32_e32 0, v8
	s_cbranch_execz .LBB15_21
; %bb.8:
	s_lshl_b32 s6, s10, 1
	v_add_nc_u32_e32 v10, 0x4004, v1
	s_ashr_i32 s7, s6, 31
	v_dual_mov_b32 v12, 0 :: v_dual_add_nc_u32 v11, 1, v0
	s_lshl_b64 s[6:7], s[6:7], 2
	s_mov_b64 s[0:1], src_shared_base
	s_add_nc_u64 s[6:7], s[4:5], s[6:7]
	s_delay_alu instid0(SALU_CYCLE_1)
	s_add_nc_u64 s[10:11], s[6:7], s[12:13]
	s_mov_b32 s12, 0
	s_branch .LBB15_11
.LBB15_9:                               ;   in Loop: Header=BB15_11 Depth=1
	s_or_b32 exec_lo, exec_lo, s0
	s_delay_alu instid0(VALU_DEP_1)
	v_mov_b32_e32 v2, v13
.LBB15_10:                              ;   in Loop: Header=BB15_11 Depth=1
	s_or_b32 exec_lo, exec_lo, s13
	v_lshlrev_b64_e32 v[4:5], 2, v[4:5]
	v_dual_add_nc_u32 v8, -1, v8 :: v_dual_add_nc_u32 v10, 4, v10
	v_add_nc_u32_e32 v11, 1, v11
	global_store_b32 v[0:1], v12, off
	v_cmp_eq_u32_e32 vcc_lo, 0, v8
	v_add_nc_u64_e32 v[14:15], s[2:3], v[4:5]
	v_add_nc_u64_e32 v[16:17], s[6:7], v[4:5]
	v_add_nc_u64_e32 v[4:5], s[10:11], v[4:5]
	global_store_b32 v[14:15], v12, off
	s_clause 0x1
	global_store_b32 v[16:17], v6, off
	global_store_b32 v[4:5], v7, off
	s_or_b32 s12, vcc_lo, s12
	s_wait_xcnt 0x0
	s_and_not1_b32 exec_lo, exec_lo, s12
	s_cbranch_execz .LBB15_20
.LBB15_11:                              ; =>This Inner Loop Header: Depth=1
	v_add_nc_u32_e32 v0, s18, v11
	v_cmp_gt_i32_e32 vcc_lo, 0x1000, v11
	v_add_nc_u32_e32 v3, 0xffffc000, v10
	s_mov_b32 s13, exec_lo
	s_delay_alu instid0(VALU_DEP_3) | instskip(NEXT) | instid1(VALU_DEP_1)
	v_ashrrev_i32_e32 v1, 31, v0
	v_lshl_add_u64 v[0:1], v[0:1], 2, s[8:9]
	s_delay_alu instid0(VALU_DEP_1) | instskip(NEXT) | instid1(VALU_DEP_2)
	v_cndmask_b32_e64 v1, v1, s1, vcc_lo
	v_cndmask_b32_e32 v0, v0, v10, vcc_lo
	flat_load_b32 v4, v[0:1]
	s_wait_loadcnt_dscnt 0x0
	v_ashrrev_i32_e32 v5, 31, v4
	s_wait_xcnt 0x0
	s_delay_alu instid0(VALU_DEP_1) | instskip(NEXT) | instid1(VALU_DEP_1)
	v_lshl_add_u64 v[0:1], v[4:5], 2, s[4:5]
	v_cndmask_b32_e64 v7, v1, s1, vcc_lo
	s_delay_alu instid0(VALU_DEP_2)
	v_cndmask_b32_e32 v6, v0, v3, vcc_lo
	flat_load_b32 v3, v[6:7]
	s_wait_xcnt 0x0
	v_dual_mov_b32 v7, 0 :: v_dual_mov_b32 v6, 1.0
	s_wait_loadcnt_dscnt 0x0
	v_cmpx_neq_f32_e32 0, v3
	s_cbranch_execz .LBB15_10
; %bb.12:                               ;   in Loop: Header=BB15_11 Depth=1
	v_xor_b32_e32 v13, 0x80000000, v3
                                        ; implicit-def: $vgpr6
	s_mov_b32 s0, exec_lo
	v_cmpx_neq_f32_e32 0, v2
	s_xor_b32 s15, exec_lo, s0
	s_cbranch_execz .LBB15_18
; %bb.13:                               ;   in Loop: Header=BB15_11 Depth=1
	s_mov_b32 s16, exec_lo
                                        ; implicit-def: $vgpr7
	v_cmpx_ngt_f32_e64 |v3|, |v2|
	s_xor_b32 s16, exec_lo, s16
	s_cbranch_execz .LBB15_15
; %bb.14:                               ;   in Loop: Header=BB15_11 Depth=1
	v_div_scale_f32 v6, null, v2, v2, -v3
	v_div_scale_f32 v14, vcc_lo, -v3, v2, -v3
	s_delay_alu instid0(VALU_DEP_2) | instskip(SKIP_1) | instid1(TRANS32_DEP_1)
	v_rcp_f32_e32 v7, v6
	v_nop
	v_fma_f32 v13, -v6, v7, 1.0
	s_delay_alu instid0(VALU_DEP_1) | instskip(NEXT) | instid1(VALU_DEP_1)
	v_fmac_f32_e32 v7, v13, v7
	v_mul_f32_e32 v13, v14, v7
	s_delay_alu instid0(VALU_DEP_1) | instskip(NEXT) | instid1(VALU_DEP_1)
	v_fma_f32 v15, -v6, v13, v14
	v_fmac_f32_e32 v13, v15, v7
	s_delay_alu instid0(VALU_DEP_1) | instskip(NEXT) | instid1(VALU_DEP_1)
	v_fma_f32 v6, -v6, v13, v14
	v_div_fmas_f32 v6, v6, v7, v13
	s_delay_alu instid0(VALU_DEP_1) | instskip(NEXT) | instid1(VALU_DEP_1)
	v_div_fixup_f32 v7, v6, v2, -v3
	v_fma_f32 v6, v7, v7, 1.0
	s_delay_alu instid0(VALU_DEP_1) | instskip(SKIP_1) | instid1(VALU_DEP_2)
	v_mul_f32_e32 v13, 0x4f800000, v6
	v_cmp_gt_f32_e32 vcc_lo, 0xf800000, v6
	v_cndmask_b32_e32 v6, v6, v13, vcc_lo
	s_delay_alu instid0(VALU_DEP_1) | instskip(SKIP_1) | instid1(TRANS32_DEP_1)
	v_sqrt_f32_e32 v13, v6
	v_nop
	v_dual_add_nc_u32 v14, -1, v13 :: v_dual_add_nc_u32 v15, 1, v13
	s_delay_alu instid0(VALU_DEP_1) | instskip(NEXT) | instid1(VALU_DEP_1)
	v_dual_fma_f32 v16, -v14, v13, v6 :: v_dual_fma_f32 v17, -v15, v13, v6
	v_cmp_ge_f32_e64 s0, 0, v16
	s_delay_alu instid0(VALU_DEP_1) | instskip(NEXT) | instid1(VALU_DEP_3)
	v_cndmask_b32_e64 v13, v13, v14, s0
	v_cmp_lt_f32_e64 s0, 0, v17
	s_delay_alu instid0(VALU_DEP_1) | instskip(NEXT) | instid1(VALU_DEP_1)
	v_cndmask_b32_e64 v13, v13, v15, s0
	v_mul_f32_e32 v14, 0x37800000, v13
	s_delay_alu instid0(VALU_DEP_1) | instskip(SKIP_1) | instid1(VALU_DEP_2)
	v_cndmask_b32_e32 v13, v13, v14, vcc_lo
	v_cmp_class_f32_e64 vcc_lo, v6, 0x260
	v_cndmask_b32_e32 v6, v13, v6, vcc_lo
	s_delay_alu instid0(VALU_DEP_1) | instskip(NEXT) | instid1(VALU_DEP_1)
	v_div_scale_f32 v13, null, v6, v6, 1.0
	v_rcp_f32_e32 v14, v13
	v_nop
	s_delay_alu instid0(TRANS32_DEP_1) | instskip(NEXT) | instid1(VALU_DEP_1)
	v_fma_f32 v15, -v13, v14, 1.0
	v_fmac_f32_e32 v14, v15, v14
	v_div_scale_f32 v15, vcc_lo, 1.0, v6, 1.0
	s_delay_alu instid0(VALU_DEP_1) | instskip(NEXT) | instid1(VALU_DEP_1)
	v_mul_f32_e32 v16, v15, v14
	v_fma_f32 v17, -v13, v16, v15
	s_delay_alu instid0(VALU_DEP_1) | instskip(NEXT) | instid1(VALU_DEP_1)
	v_fmac_f32_e32 v16, v17, v14
	v_fma_f32 v13, -v13, v16, v15
	s_delay_alu instid0(VALU_DEP_1) | instskip(NEXT) | instid1(VALU_DEP_1)
	v_div_fmas_f32 v13, v13, v14, v16
	v_div_fixup_f32 v6, v13, v6, 1.0
	s_delay_alu instid0(VALU_DEP_1)
	v_mul_f32_e32 v7, v7, v6
.LBB15_15:                              ;   in Loop: Header=BB15_11 Depth=1
	s_and_not1_saveexec_b32 s16, s16
	s_cbranch_execz .LBB15_17
; %bb.16:                               ;   in Loop: Header=BB15_11 Depth=1
	v_div_scale_f32 v6, null, v3, v3, -v2
	v_div_scale_f32 v14, vcc_lo, -v2, v3, -v2
	s_delay_alu instid0(VALU_DEP_2) | instskip(SKIP_1) | instid1(TRANS32_DEP_1)
	v_rcp_f32_e32 v7, v6
	v_nop
	v_fma_f32 v13, -v6, v7, 1.0
	s_delay_alu instid0(VALU_DEP_1) | instskip(NEXT) | instid1(VALU_DEP_1)
	v_fmac_f32_e32 v7, v13, v7
	v_mul_f32_e32 v13, v14, v7
	s_delay_alu instid0(VALU_DEP_1) | instskip(NEXT) | instid1(VALU_DEP_1)
	v_fma_f32 v15, -v6, v13, v14
	v_fmac_f32_e32 v13, v15, v7
	s_delay_alu instid0(VALU_DEP_1) | instskip(NEXT) | instid1(VALU_DEP_1)
	v_fma_f32 v6, -v6, v13, v14
	v_div_fmas_f32 v6, v6, v7, v13
	s_delay_alu instid0(VALU_DEP_1) | instskip(NEXT) | instid1(VALU_DEP_1)
	v_div_fixup_f32 v6, v6, v3, -v2
	v_fma_f32 v7, v6, v6, 1.0
	s_delay_alu instid0(VALU_DEP_1) | instskip(SKIP_1) | instid1(VALU_DEP_2)
	v_mul_f32_e32 v13, 0x4f800000, v7
	v_cmp_gt_f32_e32 vcc_lo, 0xf800000, v7
	v_cndmask_b32_e32 v7, v7, v13, vcc_lo
	s_delay_alu instid0(VALU_DEP_1) | instskip(SKIP_1) | instid1(TRANS32_DEP_1)
	v_sqrt_f32_e32 v13, v7
	v_nop
	v_dual_add_nc_u32 v14, -1, v13 :: v_dual_add_nc_u32 v15, 1, v13
	s_delay_alu instid0(VALU_DEP_1) | instskip(NEXT) | instid1(VALU_DEP_1)
	v_dual_fma_f32 v16, -v14, v13, v7 :: v_dual_fma_f32 v17, -v15, v13, v7
	v_cmp_ge_f32_e64 s0, 0, v16
	s_delay_alu instid0(VALU_DEP_1) | instskip(NEXT) | instid1(VALU_DEP_3)
	v_cndmask_b32_e64 v13, v13, v14, s0
	v_cmp_lt_f32_e64 s0, 0, v17
	s_delay_alu instid0(VALU_DEP_1) | instskip(NEXT) | instid1(VALU_DEP_1)
	v_cndmask_b32_e64 v13, v13, v15, s0
	v_mul_f32_e32 v14, 0x37800000, v13
	s_delay_alu instid0(VALU_DEP_1) | instskip(SKIP_1) | instid1(VALU_DEP_2)
	v_cndmask_b32_e32 v13, v13, v14, vcc_lo
	v_cmp_class_f32_e64 vcc_lo, v7, 0x260
	v_cndmask_b32_e32 v7, v13, v7, vcc_lo
	s_delay_alu instid0(VALU_DEP_1) | instskip(NEXT) | instid1(VALU_DEP_1)
	v_div_scale_f32 v13, null, v7, v7, 1.0
	v_rcp_f32_e32 v14, v13
	v_nop
	s_delay_alu instid0(TRANS32_DEP_1) | instskip(NEXT) | instid1(VALU_DEP_1)
	v_fma_f32 v15, -v13, v14, 1.0
	v_fmac_f32_e32 v14, v15, v14
	v_div_scale_f32 v15, vcc_lo, 1.0, v7, 1.0
	s_delay_alu instid0(VALU_DEP_1) | instskip(NEXT) | instid1(VALU_DEP_1)
	v_mul_f32_e32 v16, v15, v14
	v_fma_f32 v17, -v13, v16, v15
	s_delay_alu instid0(VALU_DEP_1) | instskip(NEXT) | instid1(VALU_DEP_1)
	v_fmac_f32_e32 v16, v17, v14
	v_fma_f32 v13, -v13, v16, v15
	s_delay_alu instid0(VALU_DEP_1) | instskip(NEXT) | instid1(VALU_DEP_1)
	v_div_fmas_f32 v13, v13, v14, v16
	v_div_fixup_f32 v7, v13, v7, 1.0
	s_delay_alu instid0(VALU_DEP_1)
	v_mul_f32_e32 v6, v6, v7
.LBB15_17:                              ;   in Loop: Header=BB15_11 Depth=1
	s_or_b32 exec_lo, exec_lo, s16
	s_delay_alu instid0(VALU_DEP_1) | instskip(NEXT) | instid1(VALU_DEP_1)
	v_pk_mul_f32 v[2:3], v[2:3], v[6:7]
	v_sub_f32_e32 v13, v2, v3
.LBB15_18:                              ;   in Loop: Header=BB15_11 Depth=1
	s_and_not1_saveexec_b32 s0, s15
	s_cbranch_execz .LBB15_9
; %bb.19:                               ;   in Loop: Header=BB15_11 Depth=1
	v_dual_mov_b32 v7, 1.0 :: v_dual_mov_b32 v6, 0
	s_branch .LBB15_9
.LBB15_20:
	s_or_b32 exec_lo, exec_lo, s12
.LBB15_21:
	s_delay_alu instid0(SALU_CYCLE_1)
	s_or_b32 exec_lo, exec_lo, s14
	ds_load_b32 v0, v9 offset:16384
	s_wait_dscnt 0x0
	global_store_b32 v0, v2, s[4:5] scale_offset
.LBB15_22:
	s_endpgm
	.section	.rodata,"a",@progbits
	.p2align	6, 0x0
	.amdhsa_kernel _ZN9rocsolver6v33100L38stedc_mergePrepare_DeflateApply_kernelIfEEviiPT_lS3_Pi
		.amdhsa_group_segment_fixed_size 32768
		.amdhsa_private_segment_fixed_size 0
		.amdhsa_kernarg_size 296
		.amdhsa_user_sgpr_count 2
		.amdhsa_user_sgpr_dispatch_ptr 0
		.amdhsa_user_sgpr_queue_ptr 0
		.amdhsa_user_sgpr_kernarg_segment_ptr 1
		.amdhsa_user_sgpr_dispatch_id 0
		.amdhsa_user_sgpr_kernarg_preload_length 0
		.amdhsa_user_sgpr_kernarg_preload_offset 0
		.amdhsa_user_sgpr_private_segment_size 0
		.amdhsa_wavefront_size32 1
		.amdhsa_uses_dynamic_stack 0
		.amdhsa_enable_private_segment 0
		.amdhsa_system_sgpr_workgroup_id_x 1
		.amdhsa_system_sgpr_workgroup_id_y 1
		.amdhsa_system_sgpr_workgroup_id_z 0
		.amdhsa_system_sgpr_workgroup_info 0
		.amdhsa_system_vgpr_workitem_id 0
		.amdhsa_next_free_vgpr 18
		.amdhsa_next_free_sgpr 24
		.amdhsa_named_barrier_count 0
		.amdhsa_reserve_vcc 1
		.amdhsa_float_round_mode_32 0
		.amdhsa_float_round_mode_16_64 0
		.amdhsa_float_denorm_mode_32 3
		.amdhsa_float_denorm_mode_16_64 3
		.amdhsa_fp16_overflow 0
		.amdhsa_memory_ordered 1
		.amdhsa_forward_progress 1
		.amdhsa_inst_pref_size 13
		.amdhsa_round_robin_scheduling 0
		.amdhsa_exception_fp_ieee_invalid_op 0
		.amdhsa_exception_fp_denorm_src 0
		.amdhsa_exception_fp_ieee_div_zero 0
		.amdhsa_exception_fp_ieee_overflow 0
		.amdhsa_exception_fp_ieee_underflow 0
		.amdhsa_exception_fp_ieee_inexact 0
		.amdhsa_exception_int_div_zero 0
	.end_amdhsa_kernel
	.section	.text._ZN9rocsolver6v33100L38stedc_mergePrepare_DeflateApply_kernelIfEEviiPT_lS3_Pi,"axG",@progbits,_ZN9rocsolver6v33100L38stedc_mergePrepare_DeflateApply_kernelIfEEviiPT_lS3_Pi,comdat
.Lfunc_end15:
	.size	_ZN9rocsolver6v33100L38stedc_mergePrepare_DeflateApply_kernelIfEEviiPT_lS3_Pi, .Lfunc_end15-_ZN9rocsolver6v33100L38stedc_mergePrepare_DeflateApply_kernelIfEEviiPT_lS3_Pi
                                        ; -- End function
	.set _ZN9rocsolver6v33100L38stedc_mergePrepare_DeflateApply_kernelIfEEviiPT_lS3_Pi.num_vgpr, 18
	.set _ZN9rocsolver6v33100L38stedc_mergePrepare_DeflateApply_kernelIfEEviiPT_lS3_Pi.num_agpr, 0
	.set _ZN9rocsolver6v33100L38stedc_mergePrepare_DeflateApply_kernelIfEEviiPT_lS3_Pi.numbered_sgpr, 24
	.set _ZN9rocsolver6v33100L38stedc_mergePrepare_DeflateApply_kernelIfEEviiPT_lS3_Pi.num_named_barrier, 0
	.set _ZN9rocsolver6v33100L38stedc_mergePrepare_DeflateApply_kernelIfEEviiPT_lS3_Pi.private_seg_size, 0
	.set _ZN9rocsolver6v33100L38stedc_mergePrepare_DeflateApply_kernelIfEEviiPT_lS3_Pi.uses_vcc, 1
	.set _ZN9rocsolver6v33100L38stedc_mergePrepare_DeflateApply_kernelIfEEviiPT_lS3_Pi.uses_flat_scratch, 0
	.set _ZN9rocsolver6v33100L38stedc_mergePrepare_DeflateApply_kernelIfEEviiPT_lS3_Pi.has_dyn_sized_stack, 0
	.set _ZN9rocsolver6v33100L38stedc_mergePrepare_DeflateApply_kernelIfEEviiPT_lS3_Pi.has_recursion, 0
	.set _ZN9rocsolver6v33100L38stedc_mergePrepare_DeflateApply_kernelIfEEviiPT_lS3_Pi.has_indirect_call, 0
	.section	.AMDGPU.csdata,"",@progbits
; Kernel info:
; codeLenInByte = 1616
; TotalNumSgprs: 26
; NumVgprs: 18
; ScratchSize: 0
; MemoryBound: 0
; FloatMode: 240
; IeeeMode: 1
; LDSByteSize: 32768 bytes/workgroup (compile time only)
; SGPRBlocks: 0
; VGPRBlocks: 1
; NumSGPRsForWavesPerEU: 26
; NumVGPRsForWavesPerEU: 18
; NamedBarCnt: 0
; Occupancy: 16
; WaveLimiterHint : 1
; COMPUTE_PGM_RSRC2:SCRATCH_EN: 0
; COMPUTE_PGM_RSRC2:USER_SGPR: 2
; COMPUTE_PGM_RSRC2:TRAP_HANDLER: 0
; COMPUTE_PGM_RSRC2:TGID_X_EN: 1
; COMPUTE_PGM_RSRC2:TGID_Y_EN: 1
; COMPUTE_PGM_RSRC2:TGID_Z_EN: 0
; COMPUTE_PGM_RSRC2:TIDIG_COMP_CNT: 0
	.section	.text._ZN9rocsolver6v33100L24stedc_mergeRotate_kernelIfEEviiPT_iilS3_Pi,"axG",@progbits,_ZN9rocsolver6v33100L24stedc_mergeRotate_kernelIfEEviiPT_iilS3_Pi,comdat
	.globl	_ZN9rocsolver6v33100L24stedc_mergeRotate_kernelIfEEviiPT_iilS3_Pi ; -- Begin function _ZN9rocsolver6v33100L24stedc_mergeRotate_kernelIfEEviiPT_iilS3_Pi
	.p2align	8
	.type	_ZN9rocsolver6v33100L24stedc_mergeRotate_kernelIfEEviiPT_iilS3_Pi,@function
_ZN9rocsolver6v33100L24stedc_mergeRotate_kernelIfEEviiPT_iilS3_Pi: ; @_ZN9rocsolver6v33100L24stedc_mergeRotate_kernelIfEEviiPT_iilS3_Pi
; %bb.0:
	s_load_b32 s24, s[0:1], 0x4
	s_bfe_u32 s5, ttmp6, 0x4000c
	s_bfe_u32 s6, ttmp6, 0x40010
	s_clause 0x1
	s_load_b64 s[2:3], s[0:1], 0x28
	s_load_b32 s11, s[0:1], 0x3c
	s_add_co_i32 s5, s5, 1
	s_add_co_i32 s6, s6, 1
	s_and_b32 s4, ttmp6, 15
	s_bfe_u32 s7, ttmp6, 0x40004
	s_mul_i32 s5, ttmp9, s5
	s_mul_i32 s6, ttmp7, s6
	s_getreg_b32 s8, hwreg(HW_REG_IB_STS2, 6, 4)
	s_add_co_i32 s4, s4, s5
	s_add_co_i32 s7, s7, s6
	s_wait_kmcnt 0x0
	s_ashr_i32 s25, s24, 31
	s_cmp_eq_u32 s8, 0
	s_mul_i32 s14, s24, 10
	s_cselect_b32 s10, ttmp7, s7
	s_cselect_b32 s12, ttmp9, s4
	s_mul_i32 s5, s10, s24
	s_ashr_i32 s15, s14, 31
	s_mul_i32 s4, s5, 13
	s_lshl_b64 s[8:9], s[24:25], 2
	s_ashr_i32 s5, s4, 31
	s_sub_nc_u64 s[18:19], 0, s[8:9]
	s_lshl_b64 s[6:7], s[4:5], 2
	s_lshl_b64 s[4:5], s[14:15], 2
	s_add_nc_u64 s[16:17], s[2:3], s[6:7]
	s_ashr_i32 s13, s12, 31
	s_add_nc_u64 s[26:27], s[16:17], s[4:5]
	s_lshl_b64 s[12:13], s[12:13], 2
	s_add_nc_u64 s[16:17], s[26:27], s[18:19]
	s_and_b32 s33, s11, 0xffff
	s_add_nc_u64 s[16:17], s[16:17], s[12:13]
	s_lshl_b32 s36, s33, 4
	s_load_b32 s25, s[16:17], 0x0
	s_cvt_f32_u32 s11, s36
	s_wait_xcnt 0x0
	s_mov_b32 s17, 0
	s_delay_alu instid0(SALU_CYCLE_1) | instskip(SKIP_1) | instid1(TRANS32_DEP_1)
	v_rcp_iflag_f32_e32 v1, s11
	v_nop
	v_readfirstlane_b32 s11, v1
	s_wait_kmcnt 0x0
	s_cmp_eq_u32 s25, 0
	s_cbranch_scc1 .LBB16_136
; %bb.1:
	s_mul_f32 s11, s11, 0x4f7ffffe
	s_sub_co_i32 s15, 0, s36
	s_add_co_i32 s20, s24, -1
	s_mov_b32 s19, s17
	s_cvt_u32_f32 s11, s11
	s_abs_i32 s16, s20
	s_delay_alu instid0(SALU_CYCLE_2) | instskip(NEXT) | instid1(SALU_CYCLE_1)
	s_mul_i32 s15, s15, s11
	s_mul_hi_u32 s15, s11, s15
	s_delay_alu instid0(SALU_CYCLE_1) | instskip(SKIP_2) | instid1(SALU_CYCLE_1)
	s_add_co_i32 s18, s11, s15
	s_ashr_i32 s15, s20, 31
	s_mul_u64 s[18:19], s[16:17], s[18:19]
	s_mul_i32 s11, s19, s36
	s_delay_alu instid0(SALU_CYCLE_1)
	s_sub_co_i32 s11, s16, s11
	s_add_co_i32 s16, s19, 1
	s_sub_co_i32 s17, s11, s36
	s_cmp_ge_u32 s11, s36
	s_cselect_b32 s16, s16, s19
	s_cselect_b32 s11, s17, s11
	s_add_co_i32 s17, s16, 1
	s_cmp_ge_u32 s11, s36
	s_cselect_b32 s11, s17, s16
	s_delay_alu instid0(SALU_CYCLE_1) | instskip(NEXT) | instid1(SALU_CYCLE_1)
	s_xor_b32 s11, s11, s15
	s_sub_co_i32 s37, s11, s15
	s_delay_alu instid0(SALU_CYCLE_1)
	s_cmp_lt_i32 s37, 0
	s_cbranch_scc1 .LBB16_136
; %bb.2:
	s_load_b256 s[16:23], s[0:1], 0x8
	s_wait_xcnt 0x0
	s_add_nc_u64 s[0:1], s[26:27], s[12:13]
	v_mov_b32_e32 v2, 0
	s_load_b32 s28, s[0:1], 0x0
	s_wait_xcnt 0x0
	s_mul_i32 s0, s14, s10
	s_ashr_i32 s11, s10, 31
	s_lshl_b32 s14, s24, 1
	s_ashr_i32 s1, s0, 31
	s_ashr_i32 s15, s14, 31
	s_lshl_b64 s[0:1], s[0:1], 2
	s_lshl_b64 s[14:15], s[14:15], 2
	v_dual_mov_b32 v15, v2 :: v_dual_mov_b32 v16, v2
	v_dual_mov_b32 v17, v2 :: v_dual_mov_b32 v3, v2
	;; [unrolled: 1-line block ×4, first 2 shown]
	v_mov_b32_e32 v8, v2
	s_wait_kmcnt 0x0
	s_ashr_i32 s27, s18, 31
	s_mov_b32 s26, s18
	s_mul_u64 s[10:11], s[20:21], s[10:11]
	s_add_nc_u64 s[0:1], s[22:23], s[0:1]
	s_lshl_b64 s[10:11], s[10:11], 2
	s_lshl_b64 s[22:23], s[26:27], 2
	s_mul_i32 s26, s28, s19
	v_dual_mov_b32 v9, v2 :: v_dual_mov_b32 v10, v2
	v_dual_mov_b32 v11, v2 :: v_dual_mov_b32 v12, v2
	;; [unrolled: 1-line block ×3, first 2 shown]
	s_add_nc_u64 s[20:21], s[0:1], s[14:15]
	s_add_nc_u64 s[0:1], s[16:17], s[10:11]
	s_ashr_i32 s27, s26, 31
	s_add_nc_u64 s[16:17], s[0:1], s[22:23]
	s_lshl_b64 s[0:1], s[26:27], 2
	v_mov_b64_e32 v[34:35], v[16:17]
	s_add_nc_u64 s[22:23], s[16:17], s[0:1]
	s_add_nc_u64 s[0:1], s[12:13], s[6:7]
	v_mov_b64_e32 v[32:33], v[14:15]
	v_mov_b64_e32 v[30:31], v[12:13]
	;; [unrolled: 1-line block ×15, first 2 shown]
	s_add_nc_u64 s[0:1], s[0:1], s[4:5]
	s_cmp_gt_i32 s25, 0
	s_add_nc_u64 s[0:1], s[2:3], s[0:1]
	s_add_nc_u64 s[26:27], s[20:21], s[8:9]
	s_mov_b32 s18, 0
	s_cselect_b32 s38, -1, 0
	s_add_nc_u64 s[28:29], s[0:1], 4
	s_branch .LBB16_4
.LBB16_3:                               ;   in Loop: Header=BB16_4 Depth=1
	s_wait_xcnt 0x0
	s_or_b32 exec_lo, exec_lo, s0
	s_add_co_i32 s0, s18, 1
	s_cmp_lg_u32 s18, s37
	s_mov_b32 s18, s0
	s_cbranch_scc0 .LBB16_136
.LBB16_4:                               ; =>This Loop Header: Depth=1
                                        ;     Child Loop BB16_39 Depth 2
	v_mad_u32 v52, s18, s36, v0
	s_delay_alu instid0(VALU_DEP_1)
	v_cmp_gt_i32_e64 s0, s24, v52
	s_and_saveexec_b32 s1, s0
	s_cbranch_execz .LBB16_6
; %bb.5:                                ;   in Loop: Header=BB16_4 Depth=1
	s_wait_loadcnt 0x0
	global_load_b32 v4, v52, s[22:23] scale_offset
.LBB16_6:                               ;   in Loop: Header=BB16_4 Depth=1
	s_wait_xcnt 0x0
	s_or_b32 exec_lo, exec_lo, s1
	v_add_nc_u32_e32 v54, s33, v52
	s_delay_alu instid0(VALU_DEP_1)
	v_cmp_gt_i32_e64 s1, s24, v54
	s_and_saveexec_b32 s2, s1
	s_cbranch_execz .LBB16_8
; %bb.7:                                ;   in Loop: Header=BB16_4 Depth=1
	s_wait_loadcnt 0x0
	global_load_b32 v5, v54, s[22:23] scale_offset
.LBB16_8:                               ;   in Loop: Header=BB16_4 Depth=1
	s_wait_xcnt 0x0
	s_or_b32 exec_lo, exec_lo, s2
	v_add_nc_u32_e32 v56, s33, v54
	s_delay_alu instid0(VALU_DEP_1)
	v_cmp_gt_i32_e64 s2, s24, v56
	s_and_saveexec_b32 s3, s2
	s_cbranch_execz .LBB16_10
; %bb.9:                                ;   in Loop: Header=BB16_4 Depth=1
	s_wait_loadcnt 0x0
	global_load_b32 v6, v56, s[22:23] scale_offset
.LBB16_10:                              ;   in Loop: Header=BB16_4 Depth=1
	s_wait_xcnt 0x0
	s_or_b32 exec_lo, exec_lo, s3
	v_add_nc_u32_e32 v58, s33, v56
	s_delay_alu instid0(VALU_DEP_1)
	v_cmp_gt_i32_e64 s3, s24, v58
	s_and_saveexec_b32 s4, s3
	s_cbranch_execz .LBB16_12
; %bb.11:                               ;   in Loop: Header=BB16_4 Depth=1
	s_wait_loadcnt 0x0
	global_load_b32 v7, v58, s[22:23] scale_offset
.LBB16_12:                              ;   in Loop: Header=BB16_4 Depth=1
	s_wait_xcnt 0x0
	s_or_b32 exec_lo, exec_lo, s4
	v_add_nc_u32_e32 v60, s33, v58
	s_delay_alu instid0(VALU_DEP_1)
	v_cmp_gt_i32_e64 s4, s24, v60
	s_and_saveexec_b32 s5, s4
	s_cbranch_execz .LBB16_14
; %bb.13:                               ;   in Loop: Header=BB16_4 Depth=1
	s_wait_loadcnt 0x0
	global_load_b32 v8, v60, s[22:23] scale_offset
.LBB16_14:                              ;   in Loop: Header=BB16_4 Depth=1
	;; [unrolled: 11-line block ×13, first 2 shown]
	s_wait_xcnt 0x0
	s_or_b32 exec_lo, exec_lo, s30
	s_delay_alu instid0(SALU_CYCLE_1)
	s_and_b32 vcc_lo, exec_lo, s38
	s_cbranch_vccz .LBB16_104
; %bb.37:                               ;   in Loop: Header=BB16_4 Depth=1
	v_dual_ashrrev_i32 v53, 31, v52 :: v_dual_ashrrev_i32 v55, 31, v54
	v_dual_ashrrev_i32 v57, 31, v56 :: v_dual_ashrrev_i32 v59, 31, v58
	;; [unrolled: 1-line block ×8, first 2 shown]
	s_mov_b32 s39, s25
	s_mov_b64 s[30:31], s[28:29]
	s_branch .LBB16_39
.LBB16_38:                              ;   in Loop: Header=BB16_39 Depth=2
	s_wait_xcnt 0x0
	s_or_b32 exec_lo, exec_lo, s34
	v_pk_mul_f32 v[20:21], v[86:87], v[20:21] op_sel_hi:[0,1]
	v_pk_mul_f32 v[22:23], v[86:87], v[22:23] op_sel_hi:[0,1]
	;; [unrolled: 1-line block ×8, first 2 shown]
	v_pk_fma_f32 v[18:19], v[84:85], v[18:19], v[34:35] op_sel_hi:[0,1,1] neg_lo:[0,0,1] neg_hi:[0,0,1]
	v_pk_fma_f32 v[16:17], v[84:85], v[16:17], v[32:33] op_sel_hi:[0,1,1] neg_lo:[0,0,1] neg_hi:[0,0,1]
	;; [unrolled: 1-line block ×8, first 2 shown]
	v_mov_b64_e32 v[20:21], v[36:37]
	v_mov_b64_e32 v[22:23], v[38:39]
	;; [unrolled: 1-line block ×8, first 2 shown]
	s_add_co_i32 s39, s39, -1
	s_add_nc_u64 s[30:31], s[30:31], 4
	s_cmp_eq_u32 s39, 0
	s_wait_storecnt 0x0
	s_barrier_signal -1
	s_barrier_wait -1
	s_cbranch_scc1 .LBB16_103
.LBB16_39:                              ;   Parent Loop BB16_4 Depth=1
                                        ; =>  This Inner Loop Header: Depth=2
	global_load_b32 v1, v2, s[30:31]
	s_wait_loadcnt 0x0
	s_clause 0x1
	global_load_b32 v84, v1, s[20:21] scale_offset
	global_load_b32 v86, v1, s[26:27] scale_offset
	v_readfirstlane_b32 s34, v1
	s_mul_i32 s34, s34, s19
	s_delay_alu instid0(SALU_CYCLE_1) | instskip(NEXT) | instid1(SALU_CYCLE_1)
	s_ashr_i32 s35, s34, 31
	s_lshl_b64 s[34:35], s[34:35], 2
	s_delay_alu instid0(SALU_CYCLE_1) | instskip(NEXT) | instid1(SALU_CYCLE_1)
	s_add_nc_u64 s[34:35], s[16:17], s[34:35]
	v_lshl_add_u64 v[38:39], v[52:53], 2, s[34:35]
	s_wait_xcnt 0x0
	s_and_saveexec_b32 s40, s0
	s_cbranch_execnz .LBB16_88
; %bb.40:                               ;   in Loop: Header=BB16_39 Depth=2
	s_or_b32 exec_lo, exec_lo, s40
	v_lshl_add_u64 v[42:43], v[54:55], 2, s[34:35]
	s_and_saveexec_b32 s40, s1
	s_cbranch_execnz .LBB16_89
.LBB16_41:                              ;   in Loop: Header=BB16_39 Depth=2
	s_or_b32 exec_lo, exec_lo, s40
	v_lshl_add_u64 v[40:41], v[56:57], 2, s[34:35]
	s_and_saveexec_b32 s40, s2
	s_cbranch_execnz .LBB16_90
.LBB16_42:                              ;   in Loop: Header=BB16_39 Depth=2
	s_or_b32 exec_lo, exec_lo, s40
	v_lshl_add_u64 v[46:47], v[58:59], 2, s[34:35]
	s_and_saveexec_b32 s40, s3
	s_cbranch_execnz .LBB16_91
.LBB16_43:                              ;   in Loop: Header=BB16_39 Depth=2
	s_or_b32 exec_lo, exec_lo, s40
	v_lshl_add_u64 v[44:45], v[60:61], 2, s[34:35]
	s_and_saveexec_b32 s40, s4
	s_cbranch_execnz .LBB16_92
.LBB16_44:                              ;   in Loop: Header=BB16_39 Depth=2
	s_or_b32 exec_lo, exec_lo, s40
	v_lshl_add_u64 v[50:51], v[62:63], 2, s[34:35]
	s_and_saveexec_b32 s40, s5
	s_cbranch_execnz .LBB16_93
.LBB16_45:                              ;   in Loop: Header=BB16_39 Depth=2
	s_or_b32 exec_lo, exec_lo, s40
	v_lshl_add_u64 v[48:49], v[64:65], 2, s[34:35]
	s_and_saveexec_b32 s40, s6
	s_cbranch_execnz .LBB16_94
.LBB16_46:                              ;   in Loop: Header=BB16_39 Depth=2
	s_or_b32 exec_lo, exec_lo, s40
	v_lshl_add_u64 v[90:91], v[66:67], 2, s[34:35]
	s_and_saveexec_b32 s40, s7
	s_cbranch_execnz .LBB16_95
.LBB16_47:                              ;   in Loop: Header=BB16_39 Depth=2
	s_or_b32 exec_lo, exec_lo, s40
	v_lshl_add_u64 v[88:89], v[68:69], 2, s[34:35]
	s_and_saveexec_b32 s40, s8
	s_cbranch_execnz .LBB16_96
.LBB16_48:                              ;   in Loop: Header=BB16_39 Depth=2
	s_or_b32 exec_lo, exec_lo, s40
	v_lshl_add_u64 v[94:95], v[70:71], 2, s[34:35]
	s_and_saveexec_b32 s40, s9
	s_cbranch_execnz .LBB16_97
.LBB16_49:                              ;   in Loop: Header=BB16_39 Depth=2
	s_or_b32 exec_lo, exec_lo, s40
	v_lshl_add_u64 v[92:93], v[72:73], 2, s[34:35]
	s_and_saveexec_b32 s40, s10
	s_cbranch_execnz .LBB16_98
.LBB16_50:                              ;   in Loop: Header=BB16_39 Depth=2
	s_or_b32 exec_lo, exec_lo, s40
	v_lshl_add_u64 v[98:99], v[74:75], 2, s[34:35]
	s_and_saveexec_b32 s40, s11
	s_cbranch_execnz .LBB16_99
.LBB16_51:                              ;   in Loop: Header=BB16_39 Depth=2
	s_or_b32 exec_lo, exec_lo, s40
	v_lshl_add_u64 v[96:97], v[76:77], 2, s[34:35]
	s_and_saveexec_b32 s40, s12
	s_cbranch_execnz .LBB16_100
.LBB16_52:                              ;   in Loop: Header=BB16_39 Depth=2
	s_or_b32 exec_lo, exec_lo, s40
	v_lshl_add_u64 v[102:103], v[78:79], 2, s[34:35]
	s_and_saveexec_b32 s40, s13
	s_cbranch_execnz .LBB16_101
.LBB16_53:                              ;   in Loop: Header=BB16_39 Depth=2
	s_or_b32 exec_lo, exec_lo, s40
	v_lshl_add_u64 v[100:101], v[80:81], 2, s[34:35]
	s_and_saveexec_b32 s40, s14
	s_cbranch_execnz .LBB16_102
.LBB16_54:                              ;   in Loop: Header=BB16_39 Depth=2
	s_or_b32 exec_lo, exec_lo, s40
	v_lshl_add_u64 v[104:105], v[82:83], 2, s[34:35]
	s_and_saveexec_b32 s34, s15
	s_cbranch_execz .LBB16_56
.LBB16_55:                              ;   in Loop: Header=BB16_39 Depth=2
	global_load_b32 v35, v[104:105], off
.LBB16_56:                              ;   in Loop: Header=BB16_39 Depth=2
	s_wait_xcnt 0x0
	s_or_b32 exec_lo, exec_lo, s34
	s_wait_loadcnt 0x0
	v_pk_mul_f32 v[36:37], v[84:85], v[20:21] op_sel_hi:[0,1]
	s_delay_alu instid0(VALU_DEP_1)
	v_pk_fma_f32 v[36:37], v[86:87], v[4:5], v[36:37] op_sel_hi:[0,1,1]
	s_and_saveexec_b32 s34, s0
	s_cbranch_execz .LBB16_58
; %bb.57:                               ;   in Loop: Header=BB16_39 Depth=2
	global_store_b32 v[38:39], v36, off
.LBB16_58:                              ;   in Loop: Header=BB16_39 Depth=2
	s_wait_xcnt 0x0
	s_or_b32 exec_lo, exec_lo, s34
	s_and_saveexec_b32 s34, s1
	s_cbranch_execz .LBB16_60
; %bb.59:                               ;   in Loop: Header=BB16_39 Depth=2
	global_store_b32 v[42:43], v37, off
.LBB16_60:                              ;   in Loop: Header=BB16_39 Depth=2
	s_wait_xcnt 0x0
	s_or_b32 exec_lo, exec_lo, s34
	v_dual_mov_b32 v85, v84 :: v_dual_mov_b32 v87, v86
	s_delay_alu instid0(VALU_DEP_1) | instskip(NEXT) | instid1(VALU_DEP_1)
	v_pk_mul_f32 v[38:39], v[84:85], v[22:23]
	v_pk_fma_f32 v[38:39], v[86:87], v[6:7], v[38:39]
	s_and_saveexec_b32 s34, s2
	s_cbranch_execz .LBB16_62
; %bb.61:                               ;   in Loop: Header=BB16_39 Depth=2
	global_store_b32 v[40:41], v38, off
.LBB16_62:                              ;   in Loop: Header=BB16_39 Depth=2
	s_wait_xcnt 0x0
	s_or_b32 exec_lo, exec_lo, s34
	s_and_saveexec_b32 s34, s3
	s_cbranch_execz .LBB16_64
; %bb.63:                               ;   in Loop: Header=BB16_39 Depth=2
	global_store_b32 v[46:47], v39, off
.LBB16_64:                              ;   in Loop: Header=BB16_39 Depth=2
	s_wait_xcnt 0x0
	s_or_b32 exec_lo, exec_lo, s34
	v_pk_mul_f32 v[40:41], v[84:85], v[24:25]
	s_delay_alu instid0(VALU_DEP_1)
	v_pk_fma_f32 v[40:41], v[86:87], v[8:9], v[40:41]
	s_and_saveexec_b32 s34, s4
	s_cbranch_execz .LBB16_66
; %bb.65:                               ;   in Loop: Header=BB16_39 Depth=2
	global_store_b32 v[44:45], v40, off
.LBB16_66:                              ;   in Loop: Header=BB16_39 Depth=2
	s_wait_xcnt 0x0
	s_or_b32 exec_lo, exec_lo, s34
	s_and_saveexec_b32 s34, s5
	s_cbranch_execz .LBB16_68
; %bb.67:                               ;   in Loop: Header=BB16_39 Depth=2
	global_store_b32 v[50:51], v41, off
.LBB16_68:                              ;   in Loop: Header=BB16_39 Depth=2
	s_wait_xcnt 0x0
	s_or_b32 exec_lo, exec_lo, s34
	v_pk_mul_f32 v[42:43], v[84:85], v[26:27]
	s_delay_alu instid0(VALU_DEP_1)
	v_pk_fma_f32 v[42:43], v[86:87], v[10:11], v[42:43]
	s_and_saveexec_b32 s34, s6
	s_cbranch_execz .LBB16_70
; %bb.69:                               ;   in Loop: Header=BB16_39 Depth=2
	global_store_b32 v[48:49], v42, off
.LBB16_70:                              ;   in Loop: Header=BB16_39 Depth=2
	s_wait_xcnt 0x0
	s_or_b32 exec_lo, exec_lo, s34
	s_and_saveexec_b32 s34, s7
	s_cbranch_execz .LBB16_72
; %bb.71:                               ;   in Loop: Header=BB16_39 Depth=2
	global_store_b32 v[90:91], v43, off
.LBB16_72:                              ;   in Loop: Header=BB16_39 Depth=2
	s_wait_xcnt 0x0
	s_or_b32 exec_lo, exec_lo, s34
	v_pk_mul_f32 v[44:45], v[84:85], v[28:29]
	s_delay_alu instid0(VALU_DEP_1)
	v_pk_fma_f32 v[44:45], v[86:87], v[12:13], v[44:45]
	s_and_saveexec_b32 s34, s8
	s_cbranch_execz .LBB16_74
; %bb.73:                               ;   in Loop: Header=BB16_39 Depth=2
	global_store_b32 v[88:89], v44, off
.LBB16_74:                              ;   in Loop: Header=BB16_39 Depth=2
	s_wait_xcnt 0x0
	s_or_b32 exec_lo, exec_lo, s34
	s_and_saveexec_b32 s34, s9
	s_cbranch_execz .LBB16_76
; %bb.75:                               ;   in Loop: Header=BB16_39 Depth=2
	global_store_b32 v[94:95], v45, off
.LBB16_76:                              ;   in Loop: Header=BB16_39 Depth=2
	s_wait_xcnt 0x0
	s_or_b32 exec_lo, exec_lo, s34
	v_pk_mul_f32 v[46:47], v[84:85], v[30:31]
	s_delay_alu instid0(VALU_DEP_1)
	v_pk_fma_f32 v[46:47], v[86:87], v[14:15], v[46:47]
	s_and_saveexec_b32 s34, s10
	s_cbranch_execz .LBB16_78
; %bb.77:                               ;   in Loop: Header=BB16_39 Depth=2
	global_store_b32 v[92:93], v46, off
.LBB16_78:                              ;   in Loop: Header=BB16_39 Depth=2
	s_wait_xcnt 0x0
	s_or_b32 exec_lo, exec_lo, s34
	s_and_saveexec_b32 s34, s11
	s_cbranch_execz .LBB16_80
; %bb.79:                               ;   in Loop: Header=BB16_39 Depth=2
	global_store_b32 v[98:99], v47, off
.LBB16_80:                              ;   in Loop: Header=BB16_39 Depth=2
	s_wait_xcnt 0x0
	s_or_b32 exec_lo, exec_lo, s34
	v_pk_mul_f32 v[48:49], v[84:85], v[32:33]
	s_delay_alu instid0(VALU_DEP_1)
	v_pk_fma_f32 v[48:49], v[86:87], v[16:17], v[48:49]
	s_and_saveexec_b32 s34, s12
	s_cbranch_execz .LBB16_82
; %bb.81:                               ;   in Loop: Header=BB16_39 Depth=2
	global_store_b32 v[96:97], v48, off
.LBB16_82:                              ;   in Loop: Header=BB16_39 Depth=2
	s_wait_xcnt 0x0
	s_or_b32 exec_lo, exec_lo, s34
	s_and_saveexec_b32 s34, s13
	s_cbranch_execz .LBB16_84
; %bb.83:                               ;   in Loop: Header=BB16_39 Depth=2
	global_store_b32 v[102:103], v49, off
.LBB16_84:                              ;   in Loop: Header=BB16_39 Depth=2
	s_wait_xcnt 0x0
	s_or_b32 exec_lo, exec_lo, s34
	v_pk_mul_f32 v[50:51], v[84:85], v[34:35]
	s_delay_alu instid0(VALU_DEP_1)
	v_pk_fma_f32 v[50:51], v[86:87], v[18:19], v[50:51]
	s_and_saveexec_b32 s34, s14
	s_cbranch_execz .LBB16_86
; %bb.85:                               ;   in Loop: Header=BB16_39 Depth=2
	global_store_b32 v[100:101], v50, off
.LBB16_86:                              ;   in Loop: Header=BB16_39 Depth=2
	s_wait_xcnt 0x0
	s_or_b32 exec_lo, exec_lo, s34
	s_and_saveexec_b32 s34, s15
	s_cbranch_execz .LBB16_38
; %bb.87:                               ;   in Loop: Header=BB16_39 Depth=2
	global_store_b32 v[104:105], v51, off
	s_branch .LBB16_38
.LBB16_88:                              ;   in Loop: Header=BB16_39 Depth=2
	global_load_b32 v20, v[38:39], off
	s_wait_xcnt 0x0
	s_or_b32 exec_lo, exec_lo, s40
	v_lshl_add_u64 v[42:43], v[54:55], 2, s[34:35]
	s_and_saveexec_b32 s40, s1
	s_cbranch_execz .LBB16_41
.LBB16_89:                              ;   in Loop: Header=BB16_39 Depth=2
	global_load_b32 v21, v[42:43], off
	s_wait_xcnt 0x0
	s_or_b32 exec_lo, exec_lo, s40
	v_lshl_add_u64 v[40:41], v[56:57], 2, s[34:35]
	s_and_saveexec_b32 s40, s2
	s_cbranch_execz .LBB16_42
.LBB16_90:                              ;   in Loop: Header=BB16_39 Depth=2
	global_load_b32 v22, v[40:41], off
	s_wait_xcnt 0x0
	s_or_b32 exec_lo, exec_lo, s40
	v_lshl_add_u64 v[46:47], v[58:59], 2, s[34:35]
	s_and_saveexec_b32 s40, s3
	s_cbranch_execz .LBB16_43
.LBB16_91:                              ;   in Loop: Header=BB16_39 Depth=2
	global_load_b32 v23, v[46:47], off
	s_wait_xcnt 0x0
	s_or_b32 exec_lo, exec_lo, s40
	v_lshl_add_u64 v[44:45], v[60:61], 2, s[34:35]
	s_and_saveexec_b32 s40, s4
	s_cbranch_execz .LBB16_44
.LBB16_92:                              ;   in Loop: Header=BB16_39 Depth=2
	global_load_b32 v24, v[44:45], off
	s_wait_xcnt 0x0
	s_or_b32 exec_lo, exec_lo, s40
	v_lshl_add_u64 v[50:51], v[62:63], 2, s[34:35]
	s_and_saveexec_b32 s40, s5
	s_cbranch_execz .LBB16_45
.LBB16_93:                              ;   in Loop: Header=BB16_39 Depth=2
	global_load_b32 v25, v[50:51], off
	s_wait_xcnt 0x0
	s_or_b32 exec_lo, exec_lo, s40
	v_lshl_add_u64 v[48:49], v[64:65], 2, s[34:35]
	s_and_saveexec_b32 s40, s6
	s_cbranch_execz .LBB16_46
.LBB16_94:                              ;   in Loop: Header=BB16_39 Depth=2
	global_load_b32 v26, v[48:49], off
	s_wait_xcnt 0x0
	s_or_b32 exec_lo, exec_lo, s40
	v_lshl_add_u64 v[90:91], v[66:67], 2, s[34:35]
	s_and_saveexec_b32 s40, s7
	s_cbranch_execz .LBB16_47
.LBB16_95:                              ;   in Loop: Header=BB16_39 Depth=2
	global_load_b32 v27, v[90:91], off
	s_wait_xcnt 0x0
	s_or_b32 exec_lo, exec_lo, s40
	v_lshl_add_u64 v[88:89], v[68:69], 2, s[34:35]
	s_and_saveexec_b32 s40, s8
	s_cbranch_execz .LBB16_48
.LBB16_96:                              ;   in Loop: Header=BB16_39 Depth=2
	global_load_b32 v28, v[88:89], off
	s_wait_xcnt 0x0
	s_or_b32 exec_lo, exec_lo, s40
	v_lshl_add_u64 v[94:95], v[70:71], 2, s[34:35]
	s_and_saveexec_b32 s40, s9
	s_cbranch_execz .LBB16_49
.LBB16_97:                              ;   in Loop: Header=BB16_39 Depth=2
	global_load_b32 v29, v[94:95], off
	s_wait_xcnt 0x0
	s_or_b32 exec_lo, exec_lo, s40
	v_lshl_add_u64 v[92:93], v[72:73], 2, s[34:35]
	s_and_saveexec_b32 s40, s10
	s_cbranch_execz .LBB16_50
.LBB16_98:                              ;   in Loop: Header=BB16_39 Depth=2
	global_load_b32 v30, v[92:93], off
	s_wait_xcnt 0x0
	s_or_b32 exec_lo, exec_lo, s40
	v_lshl_add_u64 v[98:99], v[74:75], 2, s[34:35]
	s_and_saveexec_b32 s40, s11
	s_cbranch_execz .LBB16_51
.LBB16_99:                              ;   in Loop: Header=BB16_39 Depth=2
	global_load_b32 v31, v[98:99], off
	s_wait_xcnt 0x0
	s_or_b32 exec_lo, exec_lo, s40
	v_lshl_add_u64 v[96:97], v[76:77], 2, s[34:35]
	s_and_saveexec_b32 s40, s12
	s_cbranch_execz .LBB16_52
.LBB16_100:                             ;   in Loop: Header=BB16_39 Depth=2
	global_load_b32 v32, v[96:97], off
	s_wait_xcnt 0x0
	s_or_b32 exec_lo, exec_lo, s40
	v_lshl_add_u64 v[102:103], v[78:79], 2, s[34:35]
	s_and_saveexec_b32 s40, s13
	s_cbranch_execz .LBB16_53
.LBB16_101:                             ;   in Loop: Header=BB16_39 Depth=2
	global_load_b32 v33, v[102:103], off
	s_wait_xcnt 0x0
	s_or_b32 exec_lo, exec_lo, s40
	v_lshl_add_u64 v[100:101], v[80:81], 2, s[34:35]
	s_and_saveexec_b32 s40, s14
	s_cbranch_execz .LBB16_54
.LBB16_102:                             ;   in Loop: Header=BB16_39 Depth=2
	global_load_b32 v34, v[100:101], off
	s_wait_xcnt 0x0
	s_or_b32 exec_lo, exec_lo, s40
	v_lshl_add_u64 v[104:105], v[82:83], 2, s[34:35]
	s_and_saveexec_b32 s34, s15
	s_cbranch_execnz .LBB16_55
	s_branch .LBB16_56
.LBB16_103:                             ;   in Loop: Header=BB16_4 Depth=1
	v_mov_b64_e32 v[20:21], v[36:37]
	v_mov_b64_e32 v[22:23], v[38:39]
	;; [unrolled: 1-line block ×8, first 2 shown]
.LBB16_104:                             ;   in Loop: Header=BB16_4 Depth=1
	s_and_saveexec_b32 s30, s0
	s_cbranch_execnz .LBB16_120
; %bb.105:                              ;   in Loop: Header=BB16_4 Depth=1
	s_or_b32 exec_lo, exec_lo, s30
	s_and_saveexec_b32 s0, s1
	s_cbranch_execnz .LBB16_121
.LBB16_106:                             ;   in Loop: Header=BB16_4 Depth=1
	s_or_b32 exec_lo, exec_lo, s0
	s_and_saveexec_b32 s0, s2
	s_cbranch_execnz .LBB16_122
.LBB16_107:                             ;   in Loop: Header=BB16_4 Depth=1
	s_or_b32 exec_lo, exec_lo, s0
	s_and_saveexec_b32 s0, s3
	s_cbranch_execnz .LBB16_123
.LBB16_108:                             ;   in Loop: Header=BB16_4 Depth=1
	s_or_b32 exec_lo, exec_lo, s0
	s_and_saveexec_b32 s0, s4
	s_cbranch_execnz .LBB16_124
.LBB16_109:                             ;   in Loop: Header=BB16_4 Depth=1
	s_or_b32 exec_lo, exec_lo, s0
	s_and_saveexec_b32 s0, s5
	s_cbranch_execnz .LBB16_125
.LBB16_110:                             ;   in Loop: Header=BB16_4 Depth=1
	s_or_b32 exec_lo, exec_lo, s0
	s_and_saveexec_b32 s0, s6
	s_cbranch_execnz .LBB16_126
.LBB16_111:                             ;   in Loop: Header=BB16_4 Depth=1
	s_or_b32 exec_lo, exec_lo, s0
	s_and_saveexec_b32 s0, s7
	s_cbranch_execnz .LBB16_127
.LBB16_112:                             ;   in Loop: Header=BB16_4 Depth=1
	s_or_b32 exec_lo, exec_lo, s0
	s_and_saveexec_b32 s0, s8
	s_cbranch_execnz .LBB16_128
.LBB16_113:                             ;   in Loop: Header=BB16_4 Depth=1
	s_or_b32 exec_lo, exec_lo, s0
	s_and_saveexec_b32 s0, s9
	s_cbranch_execnz .LBB16_129
.LBB16_114:                             ;   in Loop: Header=BB16_4 Depth=1
	s_or_b32 exec_lo, exec_lo, s0
	s_and_saveexec_b32 s0, s10
	s_cbranch_execnz .LBB16_130
.LBB16_115:                             ;   in Loop: Header=BB16_4 Depth=1
	s_or_b32 exec_lo, exec_lo, s0
	s_and_saveexec_b32 s0, s11
	s_cbranch_execnz .LBB16_131
.LBB16_116:                             ;   in Loop: Header=BB16_4 Depth=1
	s_or_b32 exec_lo, exec_lo, s0
	s_and_saveexec_b32 s0, s12
	s_cbranch_execnz .LBB16_132
.LBB16_117:                             ;   in Loop: Header=BB16_4 Depth=1
	s_or_b32 exec_lo, exec_lo, s0
	s_and_saveexec_b32 s0, s13
	s_cbranch_execnz .LBB16_133
.LBB16_118:                             ;   in Loop: Header=BB16_4 Depth=1
	s_or_b32 exec_lo, exec_lo, s0
	s_and_saveexec_b32 s0, s14
	s_cbranch_execnz .LBB16_134
.LBB16_119:                             ;   in Loop: Header=BB16_4 Depth=1
	s_or_b32 exec_lo, exec_lo, s0
	s_and_saveexec_b32 s0, s15
	s_cbranch_execz .LBB16_3
	s_branch .LBB16_135
.LBB16_120:                             ;   in Loop: Header=BB16_4 Depth=1
	s_wait_loadcnt 0x0
	global_store_b32 v52, v4, s[22:23] scale_offset
	s_wait_xcnt 0x0
	s_or_b32 exec_lo, exec_lo, s30
	s_and_saveexec_b32 s0, s1
	s_cbranch_execz .LBB16_106
.LBB16_121:                             ;   in Loop: Header=BB16_4 Depth=1
	s_wait_loadcnt 0x0
	global_store_b32 v54, v5, s[22:23] scale_offset
	s_wait_xcnt 0x0
	s_or_b32 exec_lo, exec_lo, s0
	s_and_saveexec_b32 s0, s2
	s_cbranch_execz .LBB16_107
.LBB16_122:                             ;   in Loop: Header=BB16_4 Depth=1
	s_wait_loadcnt 0x0
	global_store_b32 v56, v6, s[22:23] scale_offset
	s_wait_xcnt 0x0
	s_or_b32 exec_lo, exec_lo, s0
	s_and_saveexec_b32 s0, s3
	s_cbranch_execz .LBB16_108
.LBB16_123:                             ;   in Loop: Header=BB16_4 Depth=1
	s_wait_loadcnt 0x0
	global_store_b32 v58, v7, s[22:23] scale_offset
	s_wait_xcnt 0x0
	s_or_b32 exec_lo, exec_lo, s0
	s_and_saveexec_b32 s0, s4
	s_cbranch_execz .LBB16_109
.LBB16_124:                             ;   in Loop: Header=BB16_4 Depth=1
	s_wait_loadcnt 0x0
	global_store_b32 v60, v8, s[22:23] scale_offset
	s_wait_xcnt 0x0
	s_or_b32 exec_lo, exec_lo, s0
	s_and_saveexec_b32 s0, s5
	s_cbranch_execz .LBB16_110
.LBB16_125:                             ;   in Loop: Header=BB16_4 Depth=1
	s_wait_loadcnt 0x0
	global_store_b32 v62, v9, s[22:23] scale_offset
	s_wait_xcnt 0x0
	s_or_b32 exec_lo, exec_lo, s0
	s_and_saveexec_b32 s0, s6
	s_cbranch_execz .LBB16_111
.LBB16_126:                             ;   in Loop: Header=BB16_4 Depth=1
	s_wait_loadcnt 0x0
	global_store_b32 v64, v10, s[22:23] scale_offset
	s_wait_xcnt 0x0
	s_or_b32 exec_lo, exec_lo, s0
	s_and_saveexec_b32 s0, s7
	s_cbranch_execz .LBB16_112
.LBB16_127:                             ;   in Loop: Header=BB16_4 Depth=1
	s_wait_loadcnt 0x0
	global_store_b32 v66, v11, s[22:23] scale_offset
	s_wait_xcnt 0x0
	s_or_b32 exec_lo, exec_lo, s0
	s_and_saveexec_b32 s0, s8
	s_cbranch_execz .LBB16_113
.LBB16_128:                             ;   in Loop: Header=BB16_4 Depth=1
	s_wait_loadcnt 0x0
	global_store_b32 v68, v12, s[22:23] scale_offset
	s_wait_xcnt 0x0
	s_or_b32 exec_lo, exec_lo, s0
	s_and_saveexec_b32 s0, s9
	s_cbranch_execz .LBB16_114
.LBB16_129:                             ;   in Loop: Header=BB16_4 Depth=1
	s_wait_loadcnt 0x0
	global_store_b32 v70, v13, s[22:23] scale_offset
	s_wait_xcnt 0x0
	s_or_b32 exec_lo, exec_lo, s0
	s_and_saveexec_b32 s0, s10
	s_cbranch_execz .LBB16_115
.LBB16_130:                             ;   in Loop: Header=BB16_4 Depth=1
	s_wait_loadcnt 0x0
	global_store_b32 v72, v14, s[22:23] scale_offset
	s_wait_xcnt 0x0
	s_or_b32 exec_lo, exec_lo, s0
	s_and_saveexec_b32 s0, s11
	s_cbranch_execz .LBB16_116
.LBB16_131:                             ;   in Loop: Header=BB16_4 Depth=1
	s_wait_loadcnt 0x0
	global_store_b32 v74, v15, s[22:23] scale_offset
	s_wait_xcnt 0x0
	s_or_b32 exec_lo, exec_lo, s0
	s_and_saveexec_b32 s0, s12
	s_cbranch_execz .LBB16_117
.LBB16_132:                             ;   in Loop: Header=BB16_4 Depth=1
	s_wait_loadcnt 0x0
	global_store_b32 v76, v16, s[22:23] scale_offset
	s_wait_xcnt 0x0
	s_or_b32 exec_lo, exec_lo, s0
	s_and_saveexec_b32 s0, s13
	s_cbranch_execz .LBB16_118
.LBB16_133:                             ;   in Loop: Header=BB16_4 Depth=1
	s_wait_loadcnt 0x0
	global_store_b32 v78, v17, s[22:23] scale_offset
	s_wait_xcnt 0x0
	s_or_b32 exec_lo, exec_lo, s0
	s_and_saveexec_b32 s0, s14
	s_cbranch_execz .LBB16_119
.LBB16_134:                             ;   in Loop: Header=BB16_4 Depth=1
	s_wait_loadcnt 0x0
	global_store_b32 v80, v18, s[22:23] scale_offset
	s_wait_xcnt 0x0
	s_or_b32 exec_lo, exec_lo, s0
	s_and_saveexec_b32 s0, s15
	s_cbranch_execz .LBB16_3
.LBB16_135:                             ;   in Loop: Header=BB16_4 Depth=1
	s_wait_loadcnt 0x0
	global_store_b32 v82, v19, s[22:23] scale_offset
	s_branch .LBB16_3
.LBB16_136:
	s_sendmsg sendmsg(MSG_DEALLOC_VGPRS)
	s_endpgm
	.section	.rodata,"a",@progbits
	.p2align	6, 0x0
	.amdhsa_kernel _ZN9rocsolver6v33100L24stedc_mergeRotate_kernelIfEEviiPT_iilS3_Pi
		.amdhsa_group_segment_fixed_size 0
		.amdhsa_private_segment_fixed_size 0
		.amdhsa_kernarg_size 304
		.amdhsa_user_sgpr_count 2
		.amdhsa_user_sgpr_dispatch_ptr 0
		.amdhsa_user_sgpr_queue_ptr 0
		.amdhsa_user_sgpr_kernarg_segment_ptr 1
		.amdhsa_user_sgpr_dispatch_id 0
		.amdhsa_user_sgpr_kernarg_preload_length 0
		.amdhsa_user_sgpr_kernarg_preload_offset 0
		.amdhsa_user_sgpr_private_segment_size 0
		.amdhsa_wavefront_size32 1
		.amdhsa_uses_dynamic_stack 0
		.amdhsa_enable_private_segment 0
		.amdhsa_system_sgpr_workgroup_id_x 1
		.amdhsa_system_sgpr_workgroup_id_y 1
		.amdhsa_system_sgpr_workgroup_id_z 0
		.amdhsa_system_sgpr_workgroup_info 0
		.amdhsa_system_vgpr_workitem_id 0
		.amdhsa_next_free_vgpr 106
		.amdhsa_next_free_sgpr 41
		.amdhsa_named_barrier_count 0
		.amdhsa_reserve_vcc 1
		.amdhsa_float_round_mode_32 0
		.amdhsa_float_round_mode_16_64 0
		.amdhsa_float_denorm_mode_32 3
		.amdhsa_float_denorm_mode_16_64 3
		.amdhsa_fp16_overflow 0
		.amdhsa_memory_ordered 1
		.amdhsa_forward_progress 1
		.amdhsa_inst_pref_size 32
		.amdhsa_round_robin_scheduling 0
		.amdhsa_exception_fp_ieee_invalid_op 0
		.amdhsa_exception_fp_denorm_src 0
		.amdhsa_exception_fp_ieee_div_zero 0
		.amdhsa_exception_fp_ieee_overflow 0
		.amdhsa_exception_fp_ieee_underflow 0
		.amdhsa_exception_fp_ieee_inexact 0
		.amdhsa_exception_int_div_zero 0
	.end_amdhsa_kernel
	.section	.text._ZN9rocsolver6v33100L24stedc_mergeRotate_kernelIfEEviiPT_iilS3_Pi,"axG",@progbits,_ZN9rocsolver6v33100L24stedc_mergeRotate_kernelIfEEviiPT_iilS3_Pi,comdat
.Lfunc_end16:
	.size	_ZN9rocsolver6v33100L24stedc_mergeRotate_kernelIfEEviiPT_iilS3_Pi, .Lfunc_end16-_ZN9rocsolver6v33100L24stedc_mergeRotate_kernelIfEEviiPT_iilS3_Pi
                                        ; -- End function
	.set _ZN9rocsolver6v33100L24stedc_mergeRotate_kernelIfEEviiPT_iilS3_Pi.num_vgpr, 106
	.set _ZN9rocsolver6v33100L24stedc_mergeRotate_kernelIfEEviiPT_iilS3_Pi.num_agpr, 0
	.set _ZN9rocsolver6v33100L24stedc_mergeRotate_kernelIfEEviiPT_iilS3_Pi.numbered_sgpr, 41
	.set _ZN9rocsolver6v33100L24stedc_mergeRotate_kernelIfEEviiPT_iilS3_Pi.num_named_barrier, 0
	.set _ZN9rocsolver6v33100L24stedc_mergeRotate_kernelIfEEviiPT_iilS3_Pi.private_seg_size, 0
	.set _ZN9rocsolver6v33100L24stedc_mergeRotate_kernelIfEEviiPT_iilS3_Pi.uses_vcc, 1
	.set _ZN9rocsolver6v33100L24stedc_mergeRotate_kernelIfEEviiPT_iilS3_Pi.uses_flat_scratch, 0
	.set _ZN9rocsolver6v33100L24stedc_mergeRotate_kernelIfEEviiPT_iilS3_Pi.has_dyn_sized_stack, 0
	.set _ZN9rocsolver6v33100L24stedc_mergeRotate_kernelIfEEviiPT_iilS3_Pi.has_recursion, 0
	.set _ZN9rocsolver6v33100L24stedc_mergeRotate_kernelIfEEviiPT_iilS3_Pi.has_indirect_call, 0
	.section	.AMDGPU.csdata,"",@progbits
; Kernel info:
; codeLenInByte = 4048
; TotalNumSgprs: 43
; NumVgprs: 106
; ScratchSize: 0
; MemoryBound: 0
; FloatMode: 240
; IeeeMode: 1
; LDSByteSize: 0 bytes/workgroup (compile time only)
; SGPRBlocks: 0
; VGPRBlocks: 6
; NumSGPRsForWavesPerEU: 43
; NumVGPRsForWavesPerEU: 106
; NamedBarCnt: 0
; Occupancy: 9
; WaveLimiterHint : 1
; COMPUTE_PGM_RSRC2:SCRATCH_EN: 0
; COMPUTE_PGM_RSRC2:USER_SGPR: 2
; COMPUTE_PGM_RSRC2:TRAP_HANDLER: 0
; COMPUTE_PGM_RSRC2:TGID_X_EN: 1
; COMPUTE_PGM_RSRC2:TGID_Y_EN: 1
; COMPUTE_PGM_RSRC2:TGID_Z_EN: 0
; COMPUTE_PGM_RSRC2:TIDIG_COMP_CNT: 0
	.section	.text._ZN9rocsolver6v33100L31stedc_mergeValues_SortDZ_kernelIfEEviiPT_lS3_Pi,"axG",@progbits,_ZN9rocsolver6v33100L31stedc_mergeValues_SortDZ_kernelIfEEviiPT_lS3_Pi,comdat
	.globl	_ZN9rocsolver6v33100L31stedc_mergeValues_SortDZ_kernelIfEEviiPT_lS3_Pi ; -- Begin function _ZN9rocsolver6v33100L31stedc_mergeValues_SortDZ_kernelIfEEviiPT_lS3_Pi
	.p2align	8
	.type	_ZN9rocsolver6v33100L31stedc_mergeValues_SortDZ_kernelIfEEviiPT_lS3_Pi,@function
_ZN9rocsolver6v33100L31stedc_mergeValues_SortDZ_kernelIfEEviiPT_lS3_Pi: ; @_ZN9rocsolver6v33100L31stedc_mergeValues_SortDZ_kernelIfEEviiPT_lS3_Pi
; %bb.0:
	s_clause 0x1
	s_load_b32 s12, s[0:1], 0x4
	s_load_b256 s[4:11], s[0:1], 0x8
	s_bfe_u32 s3, ttmp6, 0x4000c
	s_bfe_u32 s13, ttmp6, 0x40010
	s_add_co_i32 s3, s3, 1
	s_add_co_i32 s13, s13, 1
	s_and_b32 s2, ttmp6, 15
	s_bfe_u32 s14, ttmp6, 0x40004
	s_mul_i32 s3, ttmp9, s3
	s_mul_i32 s13, ttmp7, s13
	s_getreg_b32 s15, hwreg(HW_REG_IB_STS2, 6, 4)
	s_add_co_i32 s3, s2, s3
	s_add_co_i32 s14, s14, s13
	v_mov_b32_e32 v25, 0
	s_wait_kmcnt 0x0
	s_ashr_i32 s13, s12, 31
	s_cmp_eq_u32 s15, 0
	s_cselect_b32 s2, ttmp7, s14
	s_mul_i32 s14, s12, 7
	s_mul_i32 s30, s12, s2
	s_cselect_b32 s18, ttmp9, s3
	s_mul_i32 s16, s30, 10
	s_ashr_i32 s15, s14, 31
	s_ashr_i32 s17, s16, 31
	s_lshl_b64 s[14:15], s[14:15], 2
	s_lshl_b64 s[16:17], s[16:17], 2
	;; [unrolled: 1-line block ×3, first 2 shown]
	s_add_nc_u64 s[8:9], s[8:9], s[16:17]
	s_ashr_i32 s19, s18, 31
	s_add_nc_u64 s[14:15], s[8:9], s[14:15]
	s_lshl_b64 s[16:17], s[18:19], 2
	s_add_nc_u64 s[20:21], s[14:15], s[22:23]
	s_ashr_i32 s3, s2, 31
	s_add_nc_u64 s[24:25], s[20:21], s[22:23]
	s_mul_u64 s[2:3], s[6:7], s[2:3]
	s_add_nc_u64 s[26:27], s[24:25], s[16:17]
	s_load_b32 s19, s[26:27], 0x0
	s_load_b32 s31, s[0:1], 0x34
	s_wait_xcnt 0x0
	s_lshl_b32 s26, s12, 3
	s_mul_i32 s6, s30, 13
	s_ashr_i32 s27, s26, 31
	s_ashr_i32 s7, s6, 31
	s_lshl_b64 s[28:29], s[12:13], 3
	s_lshl_b64 s[26:27], s[26:27], 2
	;; [unrolled: 1-line block ×4, first 2 shown]
	s_mov_b64 s[0:1], 0xffffffffffffffec
	s_add_nc_u64 s[6:7], s[10:11], s[6:7]
	s_mul_u64 s[0:1], s[12:13], s[0:1]
	s_add_nc_u64 s[34:35], s[4:5], s[2:3]
	s_delay_alu instid0(SALU_CYCLE_1)
	s_add_nc_u64 s[2:3], s[34:35], s[16:17]
	s_load_b32 s11, s[2:3], 0x0
	s_wait_kmcnt 0x0
	s_cmp_lt_f32 s19, 0
	s_cselect_b32 s38, -1.0, 1.0
	s_and_b32 s36, s31, 0xffff
	s_add_nc_u64 s[30:31], s[6:7], s[26:27]
	s_lshl_b32 s39, s36, 3
	s_add_nc_u64 s[26:27], s[30:31], s[28:29]
	s_cvt_f32_u32 s10, s39
	s_add_nc_u64 s[0:1], s[26:27], s[0:1]
	s_sub_co_i32 s3, 0, s39
	s_add_nc_u64 s[6:7], s[0:1], s[16:17]
	v_rcp_iflag_f32_e32 v1, s10
	s_load_b32 s40, s[6:7], 0x0
	s_add_nc_u64 s[28:29], s[0:1], s[22:23]
	s_delay_alu instid0(SALU_CYCLE_1)
	s_add_nc_u64 s[0:1], s[28:29], s[16:17]
	s_mul_f32 s37, s11, s38
	s_load_b32 s19, s[0:1], 0x0
	s_wait_xcnt 0x0
	v_nop
	v_readfirstlane_b32 s6, v1
	v_mov_b32_e32 v1, 0
	s_mul_f32 s4, s6, 0x4f7ffffe
	s_delay_alu instid0(SALU_CYCLE_3) | instskip(NEXT) | instid1(SALU_CYCLE_3)
	s_cvt_u32_f32 s2, s4
	s_mul_i32 s3, s3, s2
	s_wait_kmcnt 0x0
	s_add_co_i32 s4, s40, -1
	s_mul_hi_u32 s0, s2, s3
	s_abs_i32 s3, s4
	s_add_co_i32 s2, s2, s0
	s_add_nc_u64 s[0:1], s[8:9], s[16:17]
	s_mul_hi_u32 s2, s3, s2
	s_load_b32 s33, s[0:1], 0x0
	s_wait_xcnt 0x0
	s_mul_i32 s0, s2, s39
	s_ashr_i32 s1, s4, 31
	s_sub_co_i32 s0, s3, s0
	s_add_co_i32 s3, s2, 1
	s_sub_co_i32 s4, s0, s39
	s_cmp_ge_u32 s0, s39
	s_cselect_b32 s2, s3, s2
	s_cselect_b32 s0, s4, s0
	s_add_co_i32 s3, s2, 1
	s_cmp_ge_u32 s0, s39
	s_cselect_b32 s0, s3, s2
	s_delay_alu instid0(SALU_CYCLE_1) | instskip(NEXT) | instid1(SALU_CYCLE_1)
	s_xor_b32 s0, s0, s1
	s_sub_co_i32 s1, s0, s1
	s_mov_b32 s0, -1
	s_cmp_lt_i32 s1, 0
	s_cbranch_scc1 .LBB17_36
; %bb.1:
	s_add_nc_u64 s[2:3], s[30:31], s[16:17]
	v_dual_mov_b32 v2, 0 :: v_dual_mov_b32 v26, v0
	s_load_b32 s42, s[2:3], 0x0
	s_add_co_i32 s41, s1, 1
	s_lshl_b32 s0, s36, 1
	s_delay_alu instid0(VALU_DEP_1) | instskip(SKIP_4) | instid1(VALU_DEP_3)
	v_dual_mov_b32 v7, v2 :: v_dual_mov_b32 v8, v2
	v_dual_mov_b32 v9, v2 :: v_dual_mov_b32 v10, v2
	;; [unrolled: 1-line block ×4, first 2 shown]
	s_mul_i32 s1, s36, 3
	v_mov_b64_e32 v[22:23], v[8:9]
	s_delay_alu instid0(VALU_DEP_3) | instskip(NEXT) | instid1(VALU_DEP_3)
	v_mov_b64_e32 v[16:17], v[2:3]
	v_mov_b64_e32 v[18:19], v[4:5]
	;; [unrolled: 1-line block ×3, first 2 shown]
	s_add_co_i32 s43, s19, s0
	s_add_co_i32 s44, s19, s1
	s_lshl_b32 s0, s36, 2
	s_mul_i32 s1, s36, 5
	v_dual_mov_b32 v1, v2 :: v_dual_mov_b32 v12, v2
	v_dual_mov_b32 v11, v2 :: v_dual_mov_b32 v14, v2
	;; [unrolled: 1-line block ×5, first 2 shown]
	s_add_co_i32 s45, s19, s0
	s_add_co_i32 s46, s19, s1
	s_mul_i32 s0, s36, 6
	s_mul_i32 s1, s36, 7
	s_add_co_i32 s47, s19, s0
	s_add_co_i32 s48, s19, s1
	;; [unrolled: 1-line block ×3, first 2 shown]
	s_branch .LBB17_3
.LBB17_2:                               ;   in Loop: Header=BB17_3 Depth=1
	s_or_b32 exec_lo, exec_lo, s4
	v_add_nc_u32_e32 v26, s39, v26
	s_add_co_i32 s41, s41, -1
	s_delay_alu instid0(SALU_CYCLE_1)
	s_cmp_eq_u32 s41, 0
	s_cbranch_scc1 .LBB17_35
.LBB17_3:                               ; =>This Inner Loop Header: Depth=1
	s_delay_alu instid0(VALU_DEP_1)
	v_cmp_gt_i32_e64 s6, s40, v26
	v_add_nc_u32_e32 v29, s19, v26
	s_and_saveexec_b32 s0, s6
	s_cbranch_execz .LBB17_5
; %bb.4:                                ;   in Loop: Header=BB17_3 Depth=1
	global_load_b32 v3, v29, s[34:35] scale_offset
	s_wait_loadcnt 0x1
	global_load_b32 v16, v29, s[30:31] scale_offset
	s_wait_loadcnt 0x1
	v_mul_f32_e32 v10, s38, v3
.LBB17_5:                               ;   in Loop: Header=BB17_3 Depth=1
	s_wait_xcnt 0x0
	s_or_b32 exec_lo, exec_lo, s0
	v_dual_add_nc_u32 v3, s36, v26 :: v_dual_add_nc_u32 v9, s49, v26
	s_delay_alu instid0(VALU_DEP_1)
	v_cmp_gt_i32_e64 s5, s40, v3
	s_and_saveexec_b32 s0, s5
	s_cbranch_execz .LBB17_7
; %bb.6:                                ;   in Loop: Header=BB17_3 Depth=1
	global_load_b32 v1, v9, s[34:35] scale_offset
	s_wait_loadcnt 0x1
	global_load_b32 v17, v9, s[30:31] scale_offset
	s_wait_loadcnt 0x1
	v_mul_f32_e32 v1, s38, v1
.LBB17_7:                               ;   in Loop: Header=BB17_3 Depth=1
	s_wait_xcnt 0x0
	s_or_b32 exec_lo, exec_lo, s0
	v_dual_add_nc_u32 v3, s36, v3 :: v_dual_add_nc_u32 v8, s43, v26
	s_delay_alu instid0(VALU_DEP_1)
	v_cmp_gt_i32_e64 s4, s40, v3
	;; [unrolled: 14-line block ×3, first 2 shown]
	s_and_saveexec_b32 s0, s3
	s_cbranch_execz .LBB17_11
; %bb.10:                               ;   in Loop: Header=BB17_3 Depth=1
	global_load_b32 v4, v7, s[34:35] scale_offset
	s_wait_loadcnt 0x1
	global_load_b32 v19, v7, s[30:31] scale_offset
	s_wait_loadcnt 0x1
	v_mul_f32_e32 v11, s38, v4
.LBB17_11:                              ;   in Loop: Header=BB17_3 Depth=1
	s_wait_xcnt 0x0
	s_or_b32 exec_lo, exec_lo, s0
	v_dual_add_nc_u32 v3, s36, v3 :: v_dual_add_nc_u32 v6, s45, v26
	s_delay_alu instid0(VALU_DEP_1)
	v_cmp_gt_i32_e64 s2, s40, v3
	s_and_saveexec_b32 s0, s2
	s_cbranch_execz .LBB17_13
; %bb.12:                               ;   in Loop: Header=BB17_3 Depth=1
	global_load_b32 v4, v6, s[34:35] scale_offset
	s_wait_loadcnt 0x1
	global_load_b32 v20, v6, s[30:31] scale_offset
	s_wait_loadcnt 0x1
	v_mul_f32_e32 v14, s38, v4
.LBB17_13:                              ;   in Loop: Header=BB17_3 Depth=1
	s_wait_xcnt 0x0
	s_or_b32 exec_lo, exec_lo, s0
	v_dual_add_nc_u32 v3, s36, v3 :: v_dual_add_nc_u32 v5, s46, v26
	s_delay_alu instid0(VALU_DEP_1)
	v_cmp_gt_i32_e64 s1, s40, v3
	;; [unrolled: 14-line block ×3, first 2 shown]
	s_and_saveexec_b32 s7, s0
	s_cbranch_execz .LBB17_17
; %bb.16:                               ;   in Loop: Header=BB17_3 Depth=1
	global_load_b32 v24, v4, s[34:35] scale_offset
	s_wait_loadcnt 0x1
	global_load_b32 v22, v4, s[30:31] scale_offset
	s_wait_loadcnt 0x1
	v_mul_f32_e32 v24, s38, v24
.LBB17_17:                              ;   in Loop: Header=BB17_3 Depth=1
	s_wait_xcnt 0x0
	s_or_b32 exec_lo, exec_lo, s7
	v_add_nc_u32_e32 v3, s36, v3
	s_delay_alu instid0(VALU_DEP_1)
	v_cmp_gt_i32_e32 vcc_lo, s40, v3
	v_add_nc_u32_e32 v3, s48, v26
	s_and_saveexec_b32 s7, vcc_lo
	s_cbranch_execnz .LBB17_26
; %bb.18:                               ;   in Loop: Header=BB17_3 Depth=1
	s_or_b32 exec_lo, exec_lo, s7
	s_and_saveexec_b32 s50, s6
	s_cbranch_execnz .LBB17_27
.LBB17_19:                              ;   in Loop: Header=BB17_3 Depth=1
	s_or_b32 exec_lo, exec_lo, s50
	s_and_saveexec_b32 s10, s5
	s_cbranch_execnz .LBB17_28
.LBB17_20:                              ;   in Loop: Header=BB17_3 Depth=1
	s_or_b32 exec_lo, exec_lo, s10
	s_and_saveexec_b32 s9, s4
	s_cbranch_execnz .LBB17_29
.LBB17_21:                              ;   in Loop: Header=BB17_3 Depth=1
	s_or_b32 exec_lo, exec_lo, s9
	s_and_saveexec_b32 s8, s3
	s_cbranch_execnz .LBB17_30
.LBB17_22:                              ;   in Loop: Header=BB17_3 Depth=1
	s_or_b32 exec_lo, exec_lo, s8
	s_and_saveexec_b32 s7, s2
	s_cbranch_execnz .LBB17_31
.LBB17_23:                              ;   in Loop: Header=BB17_3 Depth=1
	s_or_b32 exec_lo, exec_lo, s7
	s_and_saveexec_b32 s6, s1
	s_cbranch_execnz .LBB17_32
.LBB17_24:                              ;   in Loop: Header=BB17_3 Depth=1
	s_or_b32 exec_lo, exec_lo, s6
	s_and_saveexec_b32 s5, s0
	s_cbranch_execnz .LBB17_33
.LBB17_25:                              ;   in Loop: Header=BB17_3 Depth=1
	s_or_b32 exec_lo, exec_lo, s5
	s_and_saveexec_b32 s4, vcc_lo
	s_cbranch_execz .LBB17_2
	s_branch .LBB17_34
.LBB17_26:                              ;   in Loop: Header=BB17_3 Depth=1
	global_load_b32 v15, v3, s[34:35] scale_offset
	s_wait_loadcnt 0x1
	global_load_b32 v23, v3, s[30:31] scale_offset
	s_wait_loadcnt 0x1
	v_mul_f32_e32 v15, s38, v15
	s_wait_xcnt 0x0
	s_or_b32 exec_lo, exec_lo, s7
	s_and_saveexec_b32 s50, s6
	s_cbranch_execz .LBB17_19
.LBB17_27:                              ;   in Loop: Header=BB17_3 Depth=1
	v_cmp_u_f32_e64 s6, v10, v10
	s_wait_loadcnt 0x0
	s_wait_kmcnt 0x0
	v_cmp_eq_u32_e64 s7, s42, v16
	v_cmp_gt_f32_e64 s8, s37, v10
	v_cmp_lt_i32_e64 s10, 0, v16
	v_cmp_eq_f32_e64 s9, s37, v10
	v_add_co_ci_u32_e64 v2, null, 0, v2, s6
	v_cmp_lt_i32_e64 s6, s42, v16
	s_delay_alu instid0(VALU_DEP_4) | instskip(SKIP_4) | instid1(SALU_CYCLE_1)
	v_add_co_ci_u32_e64 v25, null, 0, v25, s10
	s_and_b32 s10, s7, s8
	v_cmp_gt_i32_e64 s8, s18, v29
	s_and_b32 s7, s7, s9
	s_or_b32 s6, s6, s10
	v_add_co_ci_u32_e64 v27, null, 0, v27, s6
	s_and_b32 s6, s7, s8
	s_delay_alu instid0(SALU_CYCLE_1)
	v_add_co_ci_u32_e64 v28, null, 0, v28, s6
	s_or_b32 exec_lo, exec_lo, s50
	s_and_saveexec_b32 s10, s5
	s_cbranch_execz .LBB17_20
.LBB17_28:                              ;   in Loop: Header=BB17_3 Depth=1
	v_cmp_u_f32_e64 s5, v1, v1
	s_wait_loadcnt 0x0
	s_wait_kmcnt 0x0
	v_cmp_eq_u32_e64 s6, s42, v17
	v_cmp_gt_f32_e64 s7, s37, v1
	v_cmp_lt_i32_e64 s9, 0, v17
	v_cmp_eq_f32_e64 s8, s37, v1
	v_add_co_ci_u32_e64 v2, null, 0, v2, s5
	v_cmp_lt_i32_e64 s5, s42, v17
	s_delay_alu instid0(VALU_DEP_4) | instskip(SKIP_4) | instid1(SALU_CYCLE_1)
	v_add_co_ci_u32_e64 v25, null, 0, v25, s9
	s_and_b32 s9, s6, s7
	v_cmp_gt_i32_e64 s7, s18, v9
	s_and_b32 s6, s6, s8
	s_or_b32 s5, s5, s9
	v_add_co_ci_u32_e64 v27, null, 0, v27, s5
	s_and_b32 s5, s6, s7
	s_delay_alu instid0(SALU_CYCLE_1)
	v_add_co_ci_u32_e64 v28, null, 0, v28, s5
	s_or_b32 exec_lo, exec_lo, s10
	s_and_saveexec_b32 s9, s4
	s_cbranch_execz .LBB17_21
.LBB17_29:                              ;   in Loop: Header=BB17_3 Depth=1
	v_cmp_u_f32_e64 s4, v12, v12
	s_wait_loadcnt 0x0
	s_wait_kmcnt 0x0
	v_cmp_eq_u32_e64 s5, s42, v18
	v_cmp_gt_f32_e64 s6, s37, v12
	v_cmp_lt_i32_e64 s8, 0, v18
	v_cmp_eq_f32_e64 s7, s37, v12
	v_add_co_ci_u32_e64 v2, null, 0, v2, s4
	v_cmp_lt_i32_e64 s4, s42, v18
	s_delay_alu instid0(VALU_DEP_4) | instskip(SKIP_4) | instid1(SALU_CYCLE_1)
	v_add_co_ci_u32_e64 v25, null, 0, v25, s8
	s_and_b32 s8, s5, s6
	v_cmp_gt_i32_e64 s6, s18, v8
	s_and_b32 s5, s5, s7
	s_or_b32 s4, s4, s8
	v_add_co_ci_u32_e64 v27, null, 0, v27, s4
	s_and_b32 s4, s5, s6
	s_delay_alu instid0(SALU_CYCLE_1)
	v_add_co_ci_u32_e64 v28, null, 0, v28, s4
	s_or_b32 exec_lo, exec_lo, s9
	s_and_saveexec_b32 s8, s3
	s_cbranch_execz .LBB17_22
.LBB17_30:                              ;   in Loop: Header=BB17_3 Depth=1
	v_cmp_u_f32_e64 s3, v11, v11
	s_wait_loadcnt 0x0
	s_wait_kmcnt 0x0
	v_cmp_eq_u32_e64 s4, s42, v19
	v_cmp_gt_f32_e64 s5, s37, v11
	v_cmp_lt_i32_e64 s7, 0, v19
	v_cmp_eq_f32_e64 s6, s37, v11
	v_add_co_ci_u32_e64 v2, null, 0, v2, s3
	v_cmp_lt_i32_e64 s3, s42, v19
	s_delay_alu instid0(VALU_DEP_4) | instskip(SKIP_4) | instid1(SALU_CYCLE_1)
	v_add_co_ci_u32_e64 v25, null, 0, v25, s7
	s_and_b32 s7, s4, s5
	v_cmp_gt_i32_e64 s5, s18, v7
	s_and_b32 s4, s4, s6
	s_or_b32 s3, s3, s7
	v_add_co_ci_u32_e64 v27, null, 0, v27, s3
	s_and_b32 s3, s4, s5
	s_delay_alu instid0(SALU_CYCLE_1)
	v_add_co_ci_u32_e64 v28, null, 0, v28, s3
	s_or_b32 exec_lo, exec_lo, s8
	s_and_saveexec_b32 s7, s2
	s_cbranch_execz .LBB17_23
.LBB17_31:                              ;   in Loop: Header=BB17_3 Depth=1
	v_cmp_u_f32_e64 s2, v14, v14
	s_wait_loadcnt 0x0
	s_wait_kmcnt 0x0
	v_cmp_eq_u32_e64 s3, s42, v20
	v_cmp_gt_f32_e64 s4, s37, v14
	v_cmp_lt_i32_e64 s6, 0, v20
	v_cmp_eq_f32_e64 s5, s37, v14
	v_add_co_ci_u32_e64 v2, null, 0, v2, s2
	v_cmp_lt_i32_e64 s2, s42, v20
	s_delay_alu instid0(VALU_DEP_4) | instskip(SKIP_4) | instid1(SALU_CYCLE_1)
	v_add_co_ci_u32_e64 v25, null, 0, v25, s6
	s_and_b32 s6, s3, s4
	v_cmp_gt_i32_e64 s4, s18, v6
	s_and_b32 s3, s3, s5
	s_or_b32 s2, s2, s6
	v_add_co_ci_u32_e64 v27, null, 0, v27, s2
	s_and_b32 s2, s3, s4
	s_delay_alu instid0(SALU_CYCLE_1)
	v_add_co_ci_u32_e64 v28, null, 0, v28, s2
	s_or_b32 exec_lo, exec_lo, s7
	s_and_saveexec_b32 s6, s1
	s_cbranch_execz .LBB17_24
.LBB17_32:                              ;   in Loop: Header=BB17_3 Depth=1
	v_cmp_u_f32_e64 s1, v13, v13
	s_wait_loadcnt 0x0
	s_wait_kmcnt 0x0
	v_cmp_eq_u32_e64 s2, s42, v21
	v_cmp_gt_f32_e64 s3, s37, v13
	v_cmp_lt_i32_e64 s5, 0, v21
	v_cmp_eq_f32_e64 s4, s37, v13
	v_add_co_ci_u32_e64 v2, null, 0, v2, s1
	v_cmp_lt_i32_e64 s1, s42, v21
	s_delay_alu instid0(VALU_DEP_4) | instskip(SKIP_4) | instid1(SALU_CYCLE_1)
	v_add_co_ci_u32_e64 v25, null, 0, v25, s5
	s_and_b32 s5, s2, s3
	v_cmp_gt_i32_e64 s3, s18, v5
	s_and_b32 s2, s2, s4
	s_or_b32 s1, s1, s5
	v_add_co_ci_u32_e64 v27, null, 0, v27, s1
	s_and_b32 s1, s2, s3
	s_delay_alu instid0(SALU_CYCLE_1)
	v_add_co_ci_u32_e64 v28, null, 0, v28, s1
	s_or_b32 exec_lo, exec_lo, s6
	s_and_saveexec_b32 s5, s0
	s_cbranch_execz .LBB17_25
.LBB17_33:                              ;   in Loop: Header=BB17_3 Depth=1
	v_cmp_u_f32_e64 s0, v24, v24
	s_wait_loadcnt 0x0
	s_wait_kmcnt 0x0
	v_cmp_eq_u32_e64 s1, s42, v22
	v_cmp_gt_f32_e64 s2, s37, v24
	v_cmp_lt_i32_e64 s4, 0, v22
	v_cmp_eq_f32_e64 s3, s37, v24
	v_add_co_ci_u32_e64 v2, null, 0, v2, s0
	v_cmp_lt_i32_e64 s0, s42, v22
	s_delay_alu instid0(VALU_DEP_4) | instskip(SKIP_4) | instid1(SALU_CYCLE_1)
	v_add_co_ci_u32_e64 v25, null, 0, v25, s4
	s_and_b32 s4, s1, s2
	v_cmp_gt_i32_e64 s2, s18, v4
	s_and_b32 s1, s1, s3
	s_or_b32 s0, s0, s4
	v_add_co_ci_u32_e64 v27, null, 0, v27, s0
	s_and_b32 s0, s1, s2
	s_delay_alu instid0(SALU_CYCLE_1)
	v_add_co_ci_u32_e64 v28, null, 0, v28, s0
	s_or_b32 exec_lo, exec_lo, s5
	s_and_saveexec_b32 s4, vcc_lo
	s_cbranch_execz .LBB17_2
.LBB17_34:                              ;   in Loop: Header=BB17_3 Depth=1
	v_cmp_u_f32_e32 vcc_lo, v15, v15
	s_wait_loadcnt 0x0
	s_wait_kmcnt 0x0
	v_cmp_eq_u32_e64 s0, s42, v23
	v_cmp_gt_f32_e64 s1, s37, v15
	v_cmp_lt_i32_e64 s3, 0, v23
	v_cmp_eq_f32_e64 s2, s37, v15
	v_add_co_ci_u32_e64 v2, null, 0, v2, vcc_lo
	v_cmp_lt_i32_e32 vcc_lo, s42, v23
	s_delay_alu instid0(VALU_DEP_4) | instskip(SKIP_4) | instid1(SALU_CYCLE_1)
	v_add_co_ci_u32_e64 v25, null, 0, v25, s3
	s_and_b32 s3, s0, s1
	v_cmp_gt_i32_e64 s1, s18, v3
	s_and_b32 s0, s0, s2
	s_or_b32 vcc_lo, vcc_lo, s3
	v_add_co_ci_u32_e64 v27, null, 0, v27, vcc_lo
	s_and_b32 vcc_lo, s0, s1
	s_delay_alu instid0(SALU_CYCLE_1)
	v_add_co_ci_u32_e64 v28, null, 0, v28, vcc_lo
	s_branch .LBB17_2
.LBB17_35:
	v_add_nc_u32_e32 v1, v27, v28
	v_cmp_eq_u32_e64 s0, 0, v2
.LBB17_36:
	v_lshlrev_b32_e32 v2, 2, v0
	s_cmp_lt_u32 s36, 2
	ds_store_2addr_stride64_b32 v2, v25, v1 offset1:8
	s_wait_loadcnt_dscnt 0x0
	s_barrier_signal -1
	s_barrier_wait -1
	s_cbranch_scc1 .LBB17_41
; %bb.37:
	v_or_b32_e32 v3, 0x800, v2
	s_lshr_b32 s1, s36, 1
	s_mov_b32 s2, exec_lo
	v_cmpx_gt_u32_e64 s1, v0
	s_cbranch_execz .LBB17_39
.LBB17_38:
	s_lshl_b32 s3, s1, 2
	s_delay_alu instid0(SALU_CYCLE_1)
	v_dual_add_nc_u32 v4, s3, v3 :: v_dual_add_nc_u32 v5, s3, v2
	ds_load_b32 v4, v4
	ds_load_b32 v5, v5
	s_wait_dscnt 0x1
	v_add_nc_u32_e32 v1, v4, v1
	s_wait_dscnt 0x0
	v_add_nc_u32_e32 v25, v5, v25
	ds_store_b32 v3, v1
	ds_store_b32 v2, v25
.LBB17_39:                              ; =>This Inner Loop Header: Depth=1
	s_or_b32 exec_lo, exec_lo, s2
	s_cmp_gt_u32 s36, 3
	s_wait_dscnt 0x0
	s_barrier_signal -1
	s_barrier_wait -1
	s_cbranch_scc0 .LBB17_41
; %bb.40:                               ;   in Loop: Header=BB17_39 Depth=1
	s_mov_b32 s36, s1
	s_delay_alu instid0(SALU_CYCLE_1)
	s_lshr_b32 s1, s36, 1
	s_mov_b32 s2, exec_lo
	v_cmpx_gt_u32_e64 s1, v0
	s_cbranch_execnz .LBB17_38
	s_branch .LBB17_39
.LBB17_41:
	s_xor_b32 s0, s0, -1
	s_mov_b32 s1, exec_lo
	v_cmpx_eq_u32_e32 0, v0
	s_cbranch_execz .LBB17_43
; %bb.42:
	v_dual_mov_b32 v1, s18 :: v_dual_add_nc_u32 v0, s19, v1
	s_lshl_b64 s[2:3], s[12:13], 5
	s_wait_kmcnt 0x0
	v_dual_mov_b32 v2, s37 :: v_dual_mov_b32 v3, s33
	s_add_nc_u64 s[4:5], s[28:29], s[22:23]
	s_sub_nc_u64 s[2:3], 0, s[2:3]
	v_mov_b32_e32 v4, s11
	s_add_nc_u64 s[2:3], s[24:25], s[2:3]
	s_clause 0x4
	global_store_b32 v0, v25, s[4:5] scale_offset
	global_store_b32 v0, v1, s[26:27] scale_offset
	;; [unrolled: 1-line block ×5, first 2 shown]
.LBB17_43:
	s_wait_xcnt 0x0
	s_or_b32 exec_lo, exec_lo, s1
	s_wait_storecnt 0x0
	s_barrier_signal -1
	s_barrier_wait -1
	s_and_saveexec_b32 s1, s0
	s_cbranch_execz .LBB17_45
; %bb.44:
	v_dual_mov_b32 v0, 0 :: v_dual_mov_b32 v1, 0x7fc00000
	s_add_nc_u64 s[0:1], s[14:15], s[16:17]
	global_store_b32 v0, v1, s[0:1]
.LBB17_45:
	s_endpgm
	.section	.rodata,"a",@progbits
	.p2align	6, 0x0
	.amdhsa_kernel _ZN9rocsolver6v33100L31stedc_mergeValues_SortDZ_kernelIfEEviiPT_lS3_Pi
		.amdhsa_group_segment_fixed_size 4096
		.amdhsa_private_segment_fixed_size 0
		.amdhsa_kernarg_size 296
		.amdhsa_user_sgpr_count 2
		.amdhsa_user_sgpr_dispatch_ptr 0
		.amdhsa_user_sgpr_queue_ptr 0
		.amdhsa_user_sgpr_kernarg_segment_ptr 1
		.amdhsa_user_sgpr_dispatch_id 0
		.amdhsa_user_sgpr_kernarg_preload_length 0
		.amdhsa_user_sgpr_kernarg_preload_offset 0
		.amdhsa_user_sgpr_private_segment_size 0
		.amdhsa_wavefront_size32 1
		.amdhsa_uses_dynamic_stack 0
		.amdhsa_enable_private_segment 0
		.amdhsa_system_sgpr_workgroup_id_x 1
		.amdhsa_system_sgpr_workgroup_id_y 1
		.amdhsa_system_sgpr_workgroup_id_z 0
		.amdhsa_system_sgpr_workgroup_info 0
		.amdhsa_system_vgpr_workitem_id 0
		.amdhsa_next_free_vgpr 30
		.amdhsa_next_free_sgpr 51
		.amdhsa_named_barrier_count 0
		.amdhsa_reserve_vcc 1
		.amdhsa_float_round_mode_32 0
		.amdhsa_float_round_mode_16_64 0
		.amdhsa_float_denorm_mode_32 3
		.amdhsa_float_denorm_mode_16_64 3
		.amdhsa_fp16_overflow 0
		.amdhsa_memory_ordered 1
		.amdhsa_forward_progress 1
		.amdhsa_inst_pref_size 22
		.amdhsa_round_robin_scheduling 0
		.amdhsa_exception_fp_ieee_invalid_op 0
		.amdhsa_exception_fp_denorm_src 0
		.amdhsa_exception_fp_ieee_div_zero 0
		.amdhsa_exception_fp_ieee_overflow 0
		.amdhsa_exception_fp_ieee_underflow 0
		.amdhsa_exception_fp_ieee_inexact 0
		.amdhsa_exception_int_div_zero 0
	.end_amdhsa_kernel
	.section	.text._ZN9rocsolver6v33100L31stedc_mergeValues_SortDZ_kernelIfEEviiPT_lS3_Pi,"axG",@progbits,_ZN9rocsolver6v33100L31stedc_mergeValues_SortDZ_kernelIfEEviiPT_lS3_Pi,comdat
.Lfunc_end17:
	.size	_ZN9rocsolver6v33100L31stedc_mergeValues_SortDZ_kernelIfEEviiPT_lS3_Pi, .Lfunc_end17-_ZN9rocsolver6v33100L31stedc_mergeValues_SortDZ_kernelIfEEviiPT_lS3_Pi
                                        ; -- End function
	.set _ZN9rocsolver6v33100L31stedc_mergeValues_SortDZ_kernelIfEEviiPT_lS3_Pi.num_vgpr, 30
	.set _ZN9rocsolver6v33100L31stedc_mergeValues_SortDZ_kernelIfEEviiPT_lS3_Pi.num_agpr, 0
	.set _ZN9rocsolver6v33100L31stedc_mergeValues_SortDZ_kernelIfEEviiPT_lS3_Pi.numbered_sgpr, 51
	.set _ZN9rocsolver6v33100L31stedc_mergeValues_SortDZ_kernelIfEEviiPT_lS3_Pi.num_named_barrier, 0
	.set _ZN9rocsolver6v33100L31stedc_mergeValues_SortDZ_kernelIfEEviiPT_lS3_Pi.private_seg_size, 0
	.set _ZN9rocsolver6v33100L31stedc_mergeValues_SortDZ_kernelIfEEviiPT_lS3_Pi.uses_vcc, 1
	.set _ZN9rocsolver6v33100L31stedc_mergeValues_SortDZ_kernelIfEEviiPT_lS3_Pi.uses_flat_scratch, 0
	.set _ZN9rocsolver6v33100L31stedc_mergeValues_SortDZ_kernelIfEEviiPT_lS3_Pi.has_dyn_sized_stack, 0
	.set _ZN9rocsolver6v33100L31stedc_mergeValues_SortDZ_kernelIfEEviiPT_lS3_Pi.has_recursion, 0
	.set _ZN9rocsolver6v33100L31stedc_mergeValues_SortDZ_kernelIfEEviiPT_lS3_Pi.has_indirect_call, 0
	.section	.AMDGPU.csdata,"",@progbits
; Kernel info:
; codeLenInByte = 2808
; TotalNumSgprs: 53
; NumVgprs: 30
; ScratchSize: 0
; MemoryBound: 0
; FloatMode: 240
; IeeeMode: 1
; LDSByteSize: 4096 bytes/workgroup (compile time only)
; SGPRBlocks: 0
; VGPRBlocks: 1
; NumSGPRsForWavesPerEU: 53
; NumVGPRsForWavesPerEU: 30
; NamedBarCnt: 0
; Occupancy: 16
; WaveLimiterHint : 1
; COMPUTE_PGM_RSRC2:SCRATCH_EN: 0
; COMPUTE_PGM_RSRC2:USER_SGPR: 2
; COMPUTE_PGM_RSRC2:TRAP_HANDLER: 0
; COMPUTE_PGM_RSRC2:TGID_X_EN: 1
; COMPUTE_PGM_RSRC2:TGID_Y_EN: 1
; COMPUTE_PGM_RSRC2:TGID_Z_EN: 0
; COMPUTE_PGM_RSRC2:TIDIG_COMP_CNT: 0
	.section	.text._ZN9rocsolver6v33100L30stedc_mergeValues_copyD_kernelIfEEviiPT_lS3_S3_Pi,"axG",@progbits,_ZN9rocsolver6v33100L30stedc_mergeValues_copyD_kernelIfEEviiPT_lS3_S3_Pi,comdat
	.globl	_ZN9rocsolver6v33100L30stedc_mergeValues_copyD_kernelIfEEviiPT_lS3_S3_Pi ; -- Begin function _ZN9rocsolver6v33100L30stedc_mergeValues_copyD_kernelIfEEviiPT_lS3_S3_Pi
	.p2align	8
	.type	_ZN9rocsolver6v33100L30stedc_mergeValues_copyD_kernelIfEEviiPT_lS3_S3_Pi,@function
_ZN9rocsolver6v33100L30stedc_mergeValues_copyD_kernelIfEEviiPT_lS3_S3_Pi: ; @_ZN9rocsolver6v33100L30stedc_mergeValues_copyD_kernelIfEEviiPT_lS3_S3_Pi
; %bb.0:
	s_clause 0x2
	s_load_b32 s2, s[0:1], 0x4
	s_load_b256 s[4:11], s[0:1], 0x8
	s_load_b64 s[14:15], s[0:1], 0x28
	s_bfe_u32 s12, ttmp6, 0x4000c
	s_bfe_u32 s13, ttmp6, 0x40010
	s_add_co_i32 s12, s12, 1
	s_add_co_i32 s13, s13, 1
	s_and_b32 s3, ttmp6, 15
	s_bfe_u32 s16, ttmp6, 0x40004
	s_mul_i32 s12, ttmp9, s12
	s_mul_i32 s13, ttmp7, s13
	s_getreg_b32 s17, hwreg(HW_REG_IB_STS2, 6, 4)
	s_add_co_i32 s3, s3, s12
	s_add_co_i32 s16, s16, s13
	s_cmp_eq_u32 s17, 0
	s_load_b32 s13, s[0:1], 0x3c
	s_cselect_b32 s12, ttmp7, s16
	s_wait_xcnt 0x0
	s_cselect_b32 s0, ttmp9, s3
	s_mov_b32 s17, exec_lo
	s_ashr_i32 s1, s0, 31
	s_delay_alu instid0(SALU_CYCLE_1)
	s_lshl_b64 s[22:23], s[0:1], 2
	s_wait_kmcnt 0x0
	s_mul_i32 s16, s2, s12
	s_mul_i32 s18, s2, 7
	;; [unrolled: 1-line block ×3, first 2 shown]
	s_ashr_i32 s3, s2, 31
	s_ashr_i32 s21, s20, 31
	s_ashr_i32 s19, s18, 31
	s_lshl_b64 s[20:21], s[20:21], 2
	s_lshl_b64 s[18:19], s[18:19], 2
	s_add_nc_u64 s[14:15], s[14:15], s[20:21]
	s_lshl_b64 s[20:21], s[2:3], 2
	s_add_nc_u64 s[14:15], s[14:15], s[18:19]
	s_sub_nc_u64 s[20:21], 0, s[20:21]
	s_add_nc_u64 s[24:25], s[14:15], s[22:23]
	s_add_nc_u64 s[20:21], s[14:15], s[20:21]
	s_and_b32 s15, s13, 0xffff
	s_add_nc_u64 s[20:21], s[20:21], s[22:23]
	s_clause 0x1
	s_load_b32 s1, s[24:25], 0x0
	s_load_b32 s14, s[20:21], 0x0
	v_mad_u32 v1, s0, s15, v0
	s_wait_xcnt 0x0
	s_mul_i32 s20, s16, 10
	s_delay_alu instid0(SALU_CYCLE_1) | instskip(NEXT) | instid1(SALU_CYCLE_1)
	s_ashr_i32 s21, s20, 31
	s_lshl_b64 s[20:21], s[20:21], 2
	s_delay_alu instid0(SALU_CYCLE_1) | instskip(NEXT) | instid1(SALU_CYCLE_1)
	s_add_nc_u64 s[8:9], s[8:9], s[20:21]
	s_add_nc_u64 s[8:9], s[8:9], s[18:19]
	s_delay_alu instid0(VALU_DEP_1)
	v_cmpx_gt_i32_e64 s2, v1
	s_cbranch_execz .LBB18_2
; %bb.1:
	s_mov_b64 s[18:19], 0xffffffffffffffe8
	s_ashr_i32 s13, s12, 31
	s_mul_u64 s[18:19], s[2:3], s[18:19]
	s_mul_u64 s[6:7], s[6:7], s[12:13]
	s_add_nc_u64 s[18:19], s[8:9], s[18:19]
	s_lshl_b64 s[6:7], s[6:7], 2
	global_load_b32 v2, v1, s[18:19] scale_offset
	s_add_nc_u64 s[4:5], s[4:5], s[6:7]
	s_wait_loadcnt 0x0
	global_store_b32 v1, v2, s[4:5] scale_offset
.LBB18_2:
	s_wait_xcnt 0x0
	s_or_b32 exec_lo, exec_lo, s17
	s_delay_alu instid0(SALU_CYCLE_1)
	s_mov_b32 s3, exec_lo
	s_wait_kmcnt 0x0
	v_cmpx_gt_i32_e64 s1, v0
	s_cbranch_execz .LBB18_5
; %bb.3:
	s_mul_i32 s16, s16, s2
	s_mul_i32 s4, s2, s2
	s_lshl_b32 s6, s16, 1
	s_mov_b32 s5, 0
	s_ashr_i32 s7, s6, 31
	s_lshl_b64 s[12:13], s[4:5], 2
	s_lshl_b64 s[6:7], s[6:7], 2
	s_mul_i32 s0, s2, s0
	s_add_nc_u64 s[6:7], s[10:11], s[6:7]
	s_delay_alu instid0(SALU_CYCLE_1)
	s_add_nc_u64 s[6:7], s[6:7], s[12:13]
.LBB18_4:                               ; =>This Inner Loop Header: Depth=1
	v_dual_add_nc_u32 v1, s14, v0 :: v_dual_add_nc_u32 v2, s0, v0
	v_add_nc_u32_e32 v0, s15, v0
	global_load_b32 v1, v1, s[8:9] scale_offset
	v_cmp_le_i32_e32 vcc_lo, s1, v0
	s_or_b32 s5, vcc_lo, s5
	s_wait_loadcnt 0x0
	global_store_b32 v2, v1, s[6:7] scale_offset
	s_wait_xcnt 0x0
	s_and_not1_b32 exec_lo, exec_lo, s5
	s_cbranch_execnz .LBB18_4
.LBB18_5:
	s_endpgm
	.section	.rodata,"a",@progbits
	.p2align	6, 0x0
	.amdhsa_kernel _ZN9rocsolver6v33100L30stedc_mergeValues_copyD_kernelIfEEviiPT_lS3_S3_Pi
		.amdhsa_group_segment_fixed_size 0
		.amdhsa_private_segment_fixed_size 0
		.amdhsa_kernarg_size 304
		.amdhsa_user_sgpr_count 2
		.amdhsa_user_sgpr_dispatch_ptr 0
		.amdhsa_user_sgpr_queue_ptr 0
		.amdhsa_user_sgpr_kernarg_segment_ptr 1
		.amdhsa_user_sgpr_dispatch_id 0
		.amdhsa_user_sgpr_kernarg_preload_length 0
		.amdhsa_user_sgpr_kernarg_preload_offset 0
		.amdhsa_user_sgpr_private_segment_size 0
		.amdhsa_wavefront_size32 1
		.amdhsa_uses_dynamic_stack 0
		.amdhsa_enable_private_segment 0
		.amdhsa_system_sgpr_workgroup_id_x 1
		.amdhsa_system_sgpr_workgroup_id_y 1
		.amdhsa_system_sgpr_workgroup_id_z 0
		.amdhsa_system_sgpr_workgroup_info 0
		.amdhsa_system_vgpr_workitem_id 0
		.amdhsa_next_free_vgpr 3
		.amdhsa_next_free_sgpr 26
		.amdhsa_named_barrier_count 0
		.amdhsa_reserve_vcc 1
		.amdhsa_float_round_mode_32 0
		.amdhsa_float_round_mode_16_64 0
		.amdhsa_float_denorm_mode_32 3
		.amdhsa_float_denorm_mode_16_64 3
		.amdhsa_fp16_overflow 0
		.amdhsa_memory_ordered 1
		.amdhsa_forward_progress 1
		.amdhsa_inst_pref_size 4
		.amdhsa_round_robin_scheduling 0
		.amdhsa_exception_fp_ieee_invalid_op 0
		.amdhsa_exception_fp_denorm_src 0
		.amdhsa_exception_fp_ieee_div_zero 0
		.amdhsa_exception_fp_ieee_overflow 0
		.amdhsa_exception_fp_ieee_underflow 0
		.amdhsa_exception_fp_ieee_inexact 0
		.amdhsa_exception_int_div_zero 0
	.end_amdhsa_kernel
	.section	.text._ZN9rocsolver6v33100L30stedc_mergeValues_copyD_kernelIfEEviiPT_lS3_S3_Pi,"axG",@progbits,_ZN9rocsolver6v33100L30stedc_mergeValues_copyD_kernelIfEEviiPT_lS3_S3_Pi,comdat
.Lfunc_end18:
	.size	_ZN9rocsolver6v33100L30stedc_mergeValues_copyD_kernelIfEEviiPT_lS3_S3_Pi, .Lfunc_end18-_ZN9rocsolver6v33100L30stedc_mergeValues_copyD_kernelIfEEviiPT_lS3_S3_Pi
                                        ; -- End function
	.set _ZN9rocsolver6v33100L30stedc_mergeValues_copyD_kernelIfEEviiPT_lS3_S3_Pi.num_vgpr, 3
	.set _ZN9rocsolver6v33100L30stedc_mergeValues_copyD_kernelIfEEviiPT_lS3_S3_Pi.num_agpr, 0
	.set _ZN9rocsolver6v33100L30stedc_mergeValues_copyD_kernelIfEEviiPT_lS3_S3_Pi.numbered_sgpr, 26
	.set _ZN9rocsolver6v33100L30stedc_mergeValues_copyD_kernelIfEEviiPT_lS3_S3_Pi.num_named_barrier, 0
	.set _ZN9rocsolver6v33100L30stedc_mergeValues_copyD_kernelIfEEviiPT_lS3_S3_Pi.private_seg_size, 0
	.set _ZN9rocsolver6v33100L30stedc_mergeValues_copyD_kernelIfEEviiPT_lS3_S3_Pi.uses_vcc, 1
	.set _ZN9rocsolver6v33100L30stedc_mergeValues_copyD_kernelIfEEviiPT_lS3_S3_Pi.uses_flat_scratch, 0
	.set _ZN9rocsolver6v33100L30stedc_mergeValues_copyD_kernelIfEEviiPT_lS3_S3_Pi.has_dyn_sized_stack, 0
	.set _ZN9rocsolver6v33100L30stedc_mergeValues_copyD_kernelIfEEviiPT_lS3_S3_Pi.has_recursion, 0
	.set _ZN9rocsolver6v33100L30stedc_mergeValues_copyD_kernelIfEEviiPT_lS3_S3_Pi.has_indirect_call, 0
	.section	.AMDGPU.csdata,"",@progbits
; Kernel info:
; codeLenInByte = 476
; TotalNumSgprs: 28
; NumVgprs: 3
; ScratchSize: 0
; MemoryBound: 0
; FloatMode: 240
; IeeeMode: 1
; LDSByteSize: 0 bytes/workgroup (compile time only)
; SGPRBlocks: 0
; VGPRBlocks: 0
; NumSGPRsForWavesPerEU: 28
; NumVGPRsForWavesPerEU: 3
; NamedBarCnt: 0
; Occupancy: 16
; WaveLimiterHint : 1
; COMPUTE_PGM_RSRC2:SCRATCH_EN: 0
; COMPUTE_PGM_RSRC2:USER_SGPR: 2
; COMPUTE_PGM_RSRC2:TRAP_HANDLER: 0
; COMPUTE_PGM_RSRC2:TGID_X_EN: 1
; COMPUTE_PGM_RSRC2:TGID_Y_EN: 1
; COMPUTE_PGM_RSRC2:TGID_Z_EN: 0
; COMPUTE_PGM_RSRC2:TIDIG_COMP_CNT: 0
	.section	.text._ZN9rocsolver6v33100L11stedc_copyCIfPfS2_EEviT0_iilT1_iil,"axG",@progbits,_ZN9rocsolver6v33100L11stedc_copyCIfPfS2_EEviT0_iilT1_iil,comdat
	.globl	_ZN9rocsolver6v33100L11stedc_copyCIfPfS2_EEviT0_iilT1_iil ; -- Begin function _ZN9rocsolver6v33100L11stedc_copyCIfPfS2_EEviT0_iilT1_iil
	.p2align	8
	.type	_ZN9rocsolver6v33100L11stedc_copyCIfPfS2_EEviT0_iilT1_iil,@function
_ZN9rocsolver6v33100L11stedc_copyCIfPfS2_EEviT0_iilT1_iil: ; @_ZN9rocsolver6v33100L11stedc_copyCIfPfS2_EEviT0_iilT1_iil
; %bb.0:
	s_clause 0x1
	s_load_b32 s2, s[0:1], 0x44
	s_load_b32 s22, s[0:1], 0x0
	s_wait_kmcnt 0x0
	s_and_b32 s20, s2, 0xffff
	s_add_co_i32 s4, s22, -1
	s_lshl_b32 s21, s20, 4
	s_abs_i32 s5, s4
	s_cvt_f32_u32 s2, s21
	s_sub_co_i32 s3, 0, s21
	s_ashr_i32 s4, s4, 31
	s_delay_alu instid0(SALU_CYCLE_1) | instskip(SKIP_1) | instid1(TRANS32_DEP_1)
	v_rcp_iflag_f32_e32 v1, s2
	v_nop
	v_readfirstlane_b32 s2, v1
	s_mul_f32 s2, s2, 0x4f7ffffe
	s_delay_alu instid0(SALU_CYCLE_3) | instskip(NEXT) | instid1(SALU_CYCLE_3)
	s_cvt_u32_f32 s2, s2
	s_mul_i32 s3, s3, s2
	s_delay_alu instid0(SALU_CYCLE_1) | instskip(NEXT) | instid1(SALU_CYCLE_1)
	s_mul_hi_u32 s3, s2, s3
	s_add_co_i32 s2, s2, s3
	s_delay_alu instid0(SALU_CYCLE_1) | instskip(NEXT) | instid1(SALU_CYCLE_1)
	s_mul_hi_u32 s2, s5, s2
	s_mul_i32 s3, s2, s21
	s_delay_alu instid0(SALU_CYCLE_1)
	s_sub_co_i32 s3, s5, s3
	s_add_co_i32 s5, s2, 1
	s_sub_co_i32 s6, s3, s21
	s_cmp_ge_u32 s3, s21
	s_cselect_b32 s2, s5, s2
	s_cselect_b32 s3, s6, s3
	s_add_co_i32 s5, s2, 1
	s_cmp_ge_u32 s3, s21
	s_cselect_b32 s2, s5, s2
	s_delay_alu instid0(SALU_CYCLE_1) | instskip(NEXT) | instid1(SALU_CYCLE_1)
	s_xor_b32 s2, s2, s4
	s_sub_co_i32 s2, s2, s4
	s_delay_alu instid0(SALU_CYCLE_1)
	s_cmp_lt_i32 s2, 0
	s_cbranch_scc1 .LBB19_67
; %bb.1:
	s_clause 0x1
	s_load_b256 s[4:11], s[0:1], 0x8
	s_load_b128 s[12:15], s[0:1], 0x28
	s_wait_xcnt 0x0
	s_bfe_u32 s1, ttmp6, 0x4000c
	s_bfe_u32 s3, ttmp6, 0x40010
	s_add_co_i32 s1, s1, 1
	s_add_co_i32 s3, s3, 1
	s_and_b32 s0, ttmp6, 15
	s_bfe_u32 s16, ttmp6, 0x40004
	s_mul_i32 s1, ttmp9, s1
	s_mul_i32 s3, ttmp7, s3
	s_getreg_b32 s17, hwreg(HW_REG_IB_STS2, 6, 4)
	s_add_co_i32 s18, s0, s1
	s_add_co_i32 s3, s16, s3
	v_mov_b32_e32 v2, 0
	s_mul_i32 s24, s20, 3
	s_mul_i32 s26, s20, 5
	;; [unrolled: 1-line block ×4, first 2 shown]
	v_dual_mov_b32 v1, v2 :: v_dual_mov_b32 v4, v2
	s_wait_kmcnt 0x0
	s_ashr_i32 s1, s6, 31
	s_cmp_eq_u32 s17, 0
	s_mov_b32 s0, s6
	s_cselect_b32 s23, ttmp9, s18
	s_cselect_b32 s18, ttmp7, s3
	s_mov_b32 s16, s12
	s_ashr_i32 s19, s18, 31
	s_ashr_i32 s17, s12, 31
	s_mul_u64 s[8:9], s[8:9], s[18:19]
	s_mul_u64 s[14:15], s[14:15], s[18:19]
	s_mul_i32 s6, s7, s23
	s_mul_i32 s12, s13, s23
	s_lshl_b64 s[8:9], s[8:9], 2
	s_lshl_b64 s[14:15], s[14:15], 2
	;; [unrolled: 1-line block ×4, first 2 shown]
	s_ashr_i32 s7, s6, 31
	s_add_nc_u64 s[4:5], s[4:5], s[8:9]
	s_add_nc_u64 s[8:9], s[10:11], s[14:15]
	s_ashr_i32 s13, s12, 31
	v_dual_mov_b32 v3, v2 :: v_dual_mov_b32 v6, v2
	v_dual_mov_b32 v5, v2 :: v_dual_mov_b32 v8, v2
	;; [unrolled: 1-line block ×6, first 2 shown]
	v_mov_b32_e32 v15, v2
	s_add_nc_u64 s[0:1], s[4:5], s[0:1]
	s_add_nc_u64 s[4:5], s[8:9], s[16:17]
	s_lshl_b64 s[6:7], s[6:7], 2
	s_lshl_b64 s[8:9], s[12:13], 2
	s_add_nc_u64 s[16:17], s[0:1], s[6:7]
	s_add_nc_u64 s[18:19], s[4:5], s[8:9]
	s_add_co_i32 s15, s2, 1
	s_lshl_b32 s23, s20, 1
	s_lshl_b32 s25, s20, 2
	;; [unrolled: 1-line block ×3, first 2 shown]
	s_mul_i32 s30, s20, 9
	s_mul_i32 s31, s20, 10
	;; [unrolled: 1-line block ×7, first 2 shown]
	s_branch .LBB19_3
.LBB19_2:                               ;   in Loop: Header=BB19_3 Depth=1
	s_wait_xcnt 0x0
	s_or_b32 exec_lo, exec_lo, s0
	v_add_nc_u32_e32 v0, s21, v0
	s_add_co_i32 s15, s15, -1
	s_delay_alu instid0(SALU_CYCLE_1)
	s_cmp_eq_u32 s15, 0
	s_cbranch_scc1 .LBB19_67
.LBB19_3:                               ; =>This Inner Loop Header: Depth=1
	s_delay_alu instid0(VALU_DEP_1)
	v_cmp_gt_i32_e32 vcc_lo, s22, v0
	s_and_saveexec_b32 s0, vcc_lo
	s_cbranch_execz .LBB19_5
; %bb.4:                                ;   in Loop: Header=BB19_3 Depth=1
	s_wait_loadcnt 0x0
	global_load_b32 v2, v0, s[16:17] scale_offset
.LBB19_5:                               ;   in Loop: Header=BB19_3 Depth=1
	s_wait_xcnt 0x0
	s_or_b32 exec_lo, exec_lo, s0
	v_add_nc_u32_e32 v17, s20, v0
	s_delay_alu instid0(VALU_DEP_1)
	v_cmp_gt_i32_e64 s0, s22, v17
	s_and_saveexec_b32 s1, s0
	s_cbranch_execz .LBB19_7
; %bb.6:                                ;   in Loop: Header=BB19_3 Depth=1
	s_wait_loadcnt 0x0
	global_load_b32 v1, v17, s[16:17] scale_offset
.LBB19_7:                               ;   in Loop: Header=BB19_3 Depth=1
	s_wait_xcnt 0x0
	s_or_b32 exec_lo, exec_lo, s1
	v_dual_add_nc_u32 v19, s20, v17 :: v_dual_add_nc_u32 v18, s23, v0
	s_delay_alu instid0(VALU_DEP_1)
	v_cmp_gt_i32_e64 s1, s22, v19
	s_and_saveexec_b32 s2, s1
	s_cbranch_execz .LBB19_9
; %bb.8:                                ;   in Loop: Header=BB19_3 Depth=1
	s_wait_loadcnt 0x0
	global_load_b32 v4, v18, s[16:17] scale_offset
.LBB19_9:                               ;   in Loop: Header=BB19_3 Depth=1
	s_wait_xcnt 0x0
	s_or_b32 exec_lo, exec_lo, s2
	v_dual_add_nc_u32 v20, s20, v19 :: v_dual_add_nc_u32 v19, s24, v0
	s_delay_alu instid0(VALU_DEP_1)
	v_cmp_gt_i32_e64 s2, s22, v20
	s_and_saveexec_b32 s3, s2
	s_cbranch_execz .LBB19_11
; %bb.10:                               ;   in Loop: Header=BB19_3 Depth=1
	s_wait_loadcnt 0x0
	global_load_b32 v3, v19, s[16:17] scale_offset
.LBB19_11:                              ;   in Loop: Header=BB19_3 Depth=1
	s_wait_xcnt 0x0
	s_or_b32 exec_lo, exec_lo, s3
	v_add_nc_u32_e32 v21, s20, v20
	v_add_nc_u32_e32 v20, s25, v0
	s_delay_alu instid0(VALU_DEP_2)
	v_cmp_gt_i32_e64 s3, s22, v21
	s_and_saveexec_b32 s4, s3
	s_cbranch_execz .LBB19_13
; %bb.12:                               ;   in Loop: Header=BB19_3 Depth=1
	s_wait_loadcnt 0x0
	global_load_b32 v6, v20, s[16:17] scale_offset
.LBB19_13:                              ;   in Loop: Header=BB19_3 Depth=1
	s_wait_xcnt 0x0
	s_or_b32 exec_lo, exec_lo, s4
	v_dual_add_nc_u32 v22, s20, v21 :: v_dual_add_nc_u32 v21, s26, v0
	s_delay_alu instid0(VALU_DEP_1)
	v_cmp_gt_i32_e64 s4, s22, v22
	s_and_saveexec_b32 s5, s4
	s_cbranch_execz .LBB19_15
; %bb.14:                               ;   in Loop: Header=BB19_3 Depth=1
	s_wait_loadcnt 0x0
	global_load_b32 v5, v21, s[16:17] scale_offset
.LBB19_15:                              ;   in Loop: Header=BB19_3 Depth=1
	s_wait_xcnt 0x0
	s_or_b32 exec_lo, exec_lo, s5
	v_dual_add_nc_u32 v23, s20, v22 :: v_dual_add_nc_u32 v22, s27, v0
	s_delay_alu instid0(VALU_DEP_1)
	v_cmp_gt_i32_e64 s5, s22, v23
	s_and_saveexec_b32 s6, s5
	s_cbranch_execz .LBB19_17
; %bb.16:                               ;   in Loop: Header=BB19_3 Depth=1
	s_wait_loadcnt 0x0
	global_load_b32 v8, v22, s[16:17] scale_offset
.LBB19_17:                              ;   in Loop: Header=BB19_3 Depth=1
	s_wait_xcnt 0x0
	s_or_b32 exec_lo, exec_lo, s6
	v_dual_add_nc_u32 v24, s20, v23 :: v_dual_add_nc_u32 v23, s28, v0
	s_delay_alu instid0(VALU_DEP_1)
	v_cmp_gt_i32_e64 s6, s22, v24
	s_and_saveexec_b32 s7, s6
	s_cbranch_execz .LBB19_19
; %bb.18:                               ;   in Loop: Header=BB19_3 Depth=1
	s_wait_loadcnt 0x0
	global_load_b32 v7, v23, s[16:17] scale_offset
.LBB19_19:                              ;   in Loop: Header=BB19_3 Depth=1
	s_wait_xcnt 0x0
	s_or_b32 exec_lo, exec_lo, s7
	v_add_nc_u32_e32 v25, s20, v24
	v_add_nc_u32_e32 v24, s29, v0
	s_delay_alu instid0(VALU_DEP_2)
	v_cmp_gt_i32_e64 s7, s22, v25
	s_and_saveexec_b32 s8, s7
	s_cbranch_execz .LBB19_21
; %bb.20:                               ;   in Loop: Header=BB19_3 Depth=1
	s_wait_loadcnt 0x0
	global_load_b32 v10, v24, s[16:17] scale_offset
.LBB19_21:                              ;   in Loop: Header=BB19_3 Depth=1
	s_wait_xcnt 0x0
	s_or_b32 exec_lo, exec_lo, s8
	v_dual_add_nc_u32 v26, s20, v25 :: v_dual_add_nc_u32 v25, s30, v0
	s_delay_alu instid0(VALU_DEP_1)
	v_cmp_gt_i32_e64 s8, s22, v26
	s_and_saveexec_b32 s9, s8
	s_cbranch_execz .LBB19_23
; %bb.22:                               ;   in Loop: Header=BB19_3 Depth=1
	s_wait_loadcnt 0x0
	global_load_b32 v9, v25, s[16:17] scale_offset
.LBB19_23:                              ;   in Loop: Header=BB19_3 Depth=1
	s_wait_xcnt 0x0
	s_or_b32 exec_lo, exec_lo, s9
	v_dual_add_nc_u32 v27, s20, v26 :: v_dual_add_nc_u32 v26, s31, v0
	s_delay_alu instid0(VALU_DEP_1)
	v_cmp_gt_i32_e64 s9, s22, v27
	s_and_saveexec_b32 s10, s9
	s_cbranch_execz .LBB19_25
; %bb.24:                               ;   in Loop: Header=BB19_3 Depth=1
	s_wait_loadcnt 0x0
	global_load_b32 v12, v26, s[16:17] scale_offset
.LBB19_25:                              ;   in Loop: Header=BB19_3 Depth=1
	;; [unrolled: 45-line block ×3, first 2 shown]
	s_wait_xcnt 0x0
	s_or_b32 exec_lo, exec_lo, s14
	v_dual_add_nc_u32 v32, s20, v31 :: v_dual_add_nc_u32 v31, s37, v0
	s_delay_alu instid0(VALU_DEP_1)
	v_cmp_gt_i32_e64 s14, s22, v32
	s_and_saveexec_b32 s38, s14
	s_cbranch_execnz .LBB19_50
; %bb.34:                               ;   in Loop: Header=BB19_3 Depth=1
	s_or_b32 exec_lo, exec_lo, s38
	s_and_saveexec_b32 s38, vcc_lo
	s_cbranch_execnz .LBB19_51
.LBB19_35:                              ;   in Loop: Header=BB19_3 Depth=1
	s_or_b32 exec_lo, exec_lo, s38
	s_and_saveexec_b32 s38, s0
	s_cbranch_execnz .LBB19_52
.LBB19_36:                              ;   in Loop: Header=BB19_3 Depth=1
	s_or_b32 exec_lo, exec_lo, s38
	s_and_saveexec_b32 s0, s1
	s_cbranch_execnz .LBB19_53
.LBB19_37:                              ;   in Loop: Header=BB19_3 Depth=1
	s_or_b32 exec_lo, exec_lo, s0
	s_and_saveexec_b32 s0, s2
	s_cbranch_execnz .LBB19_54
.LBB19_38:                              ;   in Loop: Header=BB19_3 Depth=1
	s_or_b32 exec_lo, exec_lo, s0
	s_and_saveexec_b32 s0, s3
	s_cbranch_execnz .LBB19_55
.LBB19_39:                              ;   in Loop: Header=BB19_3 Depth=1
	s_or_b32 exec_lo, exec_lo, s0
	s_and_saveexec_b32 s0, s4
	s_cbranch_execnz .LBB19_56
.LBB19_40:                              ;   in Loop: Header=BB19_3 Depth=1
	s_or_b32 exec_lo, exec_lo, s0
	s_and_saveexec_b32 s0, s5
	s_cbranch_execnz .LBB19_57
.LBB19_41:                              ;   in Loop: Header=BB19_3 Depth=1
	s_or_b32 exec_lo, exec_lo, s0
	s_and_saveexec_b32 s0, s6
	s_cbranch_execnz .LBB19_58
.LBB19_42:                              ;   in Loop: Header=BB19_3 Depth=1
	s_or_b32 exec_lo, exec_lo, s0
	s_and_saveexec_b32 s0, s7
	s_cbranch_execnz .LBB19_59
.LBB19_43:                              ;   in Loop: Header=BB19_3 Depth=1
	s_or_b32 exec_lo, exec_lo, s0
	s_and_saveexec_b32 s0, s8
	s_cbranch_execnz .LBB19_60
.LBB19_44:                              ;   in Loop: Header=BB19_3 Depth=1
	s_or_b32 exec_lo, exec_lo, s0
	s_and_saveexec_b32 s0, s9
	s_cbranch_execnz .LBB19_61
.LBB19_45:                              ;   in Loop: Header=BB19_3 Depth=1
	s_or_b32 exec_lo, exec_lo, s0
	s_and_saveexec_b32 s0, s10
	s_cbranch_execnz .LBB19_62
.LBB19_46:                              ;   in Loop: Header=BB19_3 Depth=1
	s_or_b32 exec_lo, exec_lo, s0
	s_and_saveexec_b32 s0, s11
	s_cbranch_execnz .LBB19_63
.LBB19_47:                              ;   in Loop: Header=BB19_3 Depth=1
	s_or_b32 exec_lo, exec_lo, s0
	s_and_saveexec_b32 s0, s12
	s_cbranch_execnz .LBB19_64
.LBB19_48:                              ;   in Loop: Header=BB19_3 Depth=1
	s_or_b32 exec_lo, exec_lo, s0
	s_and_saveexec_b32 s0, s13
	s_cbranch_execnz .LBB19_65
.LBB19_49:                              ;   in Loop: Header=BB19_3 Depth=1
	s_or_b32 exec_lo, exec_lo, s0
	s_and_saveexec_b32 s0, s14
	s_cbranch_execz .LBB19_2
	s_branch .LBB19_66
.LBB19_50:                              ;   in Loop: Header=BB19_3 Depth=1
	s_wait_loadcnt 0x0
	global_load_b32 v15, v31, s[16:17] scale_offset
	s_wait_xcnt 0x0
	s_or_b32 exec_lo, exec_lo, s38
	s_and_saveexec_b32 s38, vcc_lo
	s_cbranch_execz .LBB19_35
.LBB19_51:                              ;   in Loop: Header=BB19_3 Depth=1
	s_wait_loadcnt 0x0
	global_store_b32 v0, v2, s[18:19] scale_offset
	s_wait_xcnt 0x0
	s_or_b32 exec_lo, exec_lo, s38
	s_and_saveexec_b32 s38, s0
	s_cbranch_execz .LBB19_36
.LBB19_52:                              ;   in Loop: Header=BB19_3 Depth=1
	s_wait_loadcnt 0x0
	global_store_b32 v17, v1, s[18:19] scale_offset
	s_wait_xcnt 0x0
	s_or_b32 exec_lo, exec_lo, s38
	s_and_saveexec_b32 s0, s1
	s_cbranch_execz .LBB19_37
.LBB19_53:                              ;   in Loop: Header=BB19_3 Depth=1
	s_wait_loadcnt 0x0
	global_store_b32 v18, v4, s[18:19] scale_offset
	s_wait_xcnt 0x0
	s_or_b32 exec_lo, exec_lo, s0
	s_and_saveexec_b32 s0, s2
	s_cbranch_execz .LBB19_38
.LBB19_54:                              ;   in Loop: Header=BB19_3 Depth=1
	s_wait_loadcnt 0x0
	global_store_b32 v19, v3, s[18:19] scale_offset
	s_wait_xcnt 0x0
	s_or_b32 exec_lo, exec_lo, s0
	s_and_saveexec_b32 s0, s3
	s_cbranch_execz .LBB19_39
.LBB19_55:                              ;   in Loop: Header=BB19_3 Depth=1
	s_wait_loadcnt 0x0
	global_store_b32 v20, v6, s[18:19] scale_offset
	s_wait_xcnt 0x0
	s_or_b32 exec_lo, exec_lo, s0
	s_and_saveexec_b32 s0, s4
	s_cbranch_execz .LBB19_40
.LBB19_56:                              ;   in Loop: Header=BB19_3 Depth=1
	s_wait_loadcnt 0x0
	global_store_b32 v21, v5, s[18:19] scale_offset
	s_wait_xcnt 0x0
	s_or_b32 exec_lo, exec_lo, s0
	s_and_saveexec_b32 s0, s5
	s_cbranch_execz .LBB19_41
.LBB19_57:                              ;   in Loop: Header=BB19_3 Depth=1
	s_wait_loadcnt 0x0
	global_store_b32 v22, v8, s[18:19] scale_offset
	s_wait_xcnt 0x0
	s_or_b32 exec_lo, exec_lo, s0
	s_and_saveexec_b32 s0, s6
	s_cbranch_execz .LBB19_42
.LBB19_58:                              ;   in Loop: Header=BB19_3 Depth=1
	s_wait_loadcnt 0x0
	global_store_b32 v23, v7, s[18:19] scale_offset
	s_wait_xcnt 0x0
	s_or_b32 exec_lo, exec_lo, s0
	s_and_saveexec_b32 s0, s7
	s_cbranch_execz .LBB19_43
.LBB19_59:                              ;   in Loop: Header=BB19_3 Depth=1
	s_wait_loadcnt 0x0
	global_store_b32 v24, v10, s[18:19] scale_offset
	s_wait_xcnt 0x0
	s_or_b32 exec_lo, exec_lo, s0
	s_and_saveexec_b32 s0, s8
	s_cbranch_execz .LBB19_44
.LBB19_60:                              ;   in Loop: Header=BB19_3 Depth=1
	s_wait_loadcnt 0x0
	global_store_b32 v25, v9, s[18:19] scale_offset
	s_wait_xcnt 0x0
	s_or_b32 exec_lo, exec_lo, s0
	s_and_saveexec_b32 s0, s9
	s_cbranch_execz .LBB19_45
.LBB19_61:                              ;   in Loop: Header=BB19_3 Depth=1
	s_wait_loadcnt 0x0
	global_store_b32 v26, v12, s[18:19] scale_offset
	s_wait_xcnt 0x0
	s_or_b32 exec_lo, exec_lo, s0
	s_and_saveexec_b32 s0, s10
	s_cbranch_execz .LBB19_46
.LBB19_62:                              ;   in Loop: Header=BB19_3 Depth=1
	s_wait_loadcnt 0x0
	global_store_b32 v27, v11, s[18:19] scale_offset
	s_wait_xcnt 0x0
	s_or_b32 exec_lo, exec_lo, s0
	s_and_saveexec_b32 s0, s11
	s_cbranch_execz .LBB19_47
.LBB19_63:                              ;   in Loop: Header=BB19_3 Depth=1
	s_wait_loadcnt 0x0
	global_store_b32 v28, v14, s[18:19] scale_offset
	s_wait_xcnt 0x0
	s_or_b32 exec_lo, exec_lo, s0
	s_and_saveexec_b32 s0, s12
	s_cbranch_execz .LBB19_48
.LBB19_64:                              ;   in Loop: Header=BB19_3 Depth=1
	s_wait_loadcnt 0x0
	global_store_b32 v29, v13, s[18:19] scale_offset
	s_wait_xcnt 0x0
	s_or_b32 exec_lo, exec_lo, s0
	s_and_saveexec_b32 s0, s13
	s_cbranch_execz .LBB19_49
.LBB19_65:                              ;   in Loop: Header=BB19_3 Depth=1
	s_wait_loadcnt 0x0
	global_store_b32 v30, v16, s[18:19] scale_offset
	s_wait_xcnt 0x0
	s_or_b32 exec_lo, exec_lo, s0
	s_and_saveexec_b32 s0, s14
	s_cbranch_execz .LBB19_2
.LBB19_66:                              ;   in Loop: Header=BB19_3 Depth=1
	s_wait_loadcnt 0x0
	global_store_b32 v31, v15, s[18:19] scale_offset
	s_branch .LBB19_2
.LBB19_67:
	s_endpgm
	.section	.rodata,"a",@progbits
	.p2align	6, 0x0
	.amdhsa_kernel _ZN9rocsolver6v33100L11stedc_copyCIfPfS2_EEviT0_iilT1_iil
		.amdhsa_group_segment_fixed_size 0
		.amdhsa_private_segment_fixed_size 0
		.amdhsa_kernarg_size 312
		.amdhsa_user_sgpr_count 2
		.amdhsa_user_sgpr_dispatch_ptr 0
		.amdhsa_user_sgpr_queue_ptr 0
		.amdhsa_user_sgpr_kernarg_segment_ptr 1
		.amdhsa_user_sgpr_dispatch_id 0
		.amdhsa_user_sgpr_kernarg_preload_length 0
		.amdhsa_user_sgpr_kernarg_preload_offset 0
		.amdhsa_user_sgpr_private_segment_size 0
		.amdhsa_wavefront_size32 1
		.amdhsa_uses_dynamic_stack 0
		.amdhsa_enable_private_segment 0
		.amdhsa_system_sgpr_workgroup_id_x 1
		.amdhsa_system_sgpr_workgroup_id_y 1
		.amdhsa_system_sgpr_workgroup_id_z 0
		.amdhsa_system_sgpr_workgroup_info 0
		.amdhsa_system_vgpr_workitem_id 0
		.amdhsa_next_free_vgpr 33
		.amdhsa_next_free_sgpr 39
		.amdhsa_named_barrier_count 0
		.amdhsa_reserve_vcc 1
		.amdhsa_float_round_mode_32 0
		.amdhsa_float_round_mode_16_64 0
		.amdhsa_float_denorm_mode_32 3
		.amdhsa_float_denorm_mode_16_64 3
		.amdhsa_fp16_overflow 0
		.amdhsa_memory_ordered 1
		.amdhsa_forward_progress 1
		.amdhsa_inst_pref_size 17
		.amdhsa_round_robin_scheduling 0
		.amdhsa_exception_fp_ieee_invalid_op 0
		.amdhsa_exception_fp_denorm_src 0
		.amdhsa_exception_fp_ieee_div_zero 0
		.amdhsa_exception_fp_ieee_overflow 0
		.amdhsa_exception_fp_ieee_underflow 0
		.amdhsa_exception_fp_ieee_inexact 0
		.amdhsa_exception_int_div_zero 0
	.end_amdhsa_kernel
	.section	.text._ZN9rocsolver6v33100L11stedc_copyCIfPfS2_EEviT0_iilT1_iil,"axG",@progbits,_ZN9rocsolver6v33100L11stedc_copyCIfPfS2_EEviT0_iilT1_iil,comdat
.Lfunc_end19:
	.size	_ZN9rocsolver6v33100L11stedc_copyCIfPfS2_EEviT0_iilT1_iil, .Lfunc_end19-_ZN9rocsolver6v33100L11stedc_copyCIfPfS2_EEviT0_iilT1_iil
                                        ; -- End function
	.set _ZN9rocsolver6v33100L11stedc_copyCIfPfS2_EEviT0_iilT1_iil.num_vgpr, 33
	.set _ZN9rocsolver6v33100L11stedc_copyCIfPfS2_EEviT0_iilT1_iil.num_agpr, 0
	.set _ZN9rocsolver6v33100L11stedc_copyCIfPfS2_EEviT0_iilT1_iil.numbered_sgpr, 39
	.set _ZN9rocsolver6v33100L11stedc_copyCIfPfS2_EEviT0_iilT1_iil.num_named_barrier, 0
	.set _ZN9rocsolver6v33100L11stedc_copyCIfPfS2_EEviT0_iilT1_iil.private_seg_size, 0
	.set _ZN9rocsolver6v33100L11stedc_copyCIfPfS2_EEviT0_iilT1_iil.uses_vcc, 1
	.set _ZN9rocsolver6v33100L11stedc_copyCIfPfS2_EEviT0_iilT1_iil.uses_flat_scratch, 0
	.set _ZN9rocsolver6v33100L11stedc_copyCIfPfS2_EEviT0_iilT1_iil.has_dyn_sized_stack, 0
	.set _ZN9rocsolver6v33100L11stedc_copyCIfPfS2_EEviT0_iilT1_iil.has_recursion, 0
	.set _ZN9rocsolver6v33100L11stedc_copyCIfPfS2_EEviT0_iilT1_iil.has_indirect_call, 0
	.section	.AMDGPU.csdata,"",@progbits
; Kernel info:
; codeLenInByte = 2092
; TotalNumSgprs: 41
; NumVgprs: 33
; ScratchSize: 0
; MemoryBound: 0
; FloatMode: 240
; IeeeMode: 1
; LDSByteSize: 0 bytes/workgroup (compile time only)
; SGPRBlocks: 0
; VGPRBlocks: 2
; NumSGPRsForWavesPerEU: 41
; NumVGPRsForWavesPerEU: 33
; NamedBarCnt: 0
; Occupancy: 16
; WaveLimiterHint : 0
; COMPUTE_PGM_RSRC2:SCRATCH_EN: 0
; COMPUTE_PGM_RSRC2:USER_SGPR: 2
; COMPUTE_PGM_RSRC2:TRAP_HANDLER: 0
; COMPUTE_PGM_RSRC2:TGID_X_EN: 1
; COMPUTE_PGM_RSRC2:TGID_Y_EN: 1
; COMPUTE_PGM_RSRC2:TGID_Z_EN: 0
; COMPUTE_PGM_RSRC2:TIDIG_COMP_CNT: 0
	.section	.text._ZN9rocsolver6v33100L16stedc_reshuffleCIfPfS2_EEviT0_iilT1_iilPi,"axG",@progbits,_ZN9rocsolver6v33100L16stedc_reshuffleCIfPfS2_EEviT0_iilT1_iilPi,comdat
	.globl	_ZN9rocsolver6v33100L16stedc_reshuffleCIfPfS2_EEviT0_iilT1_iilPi ; -- Begin function _ZN9rocsolver6v33100L16stedc_reshuffleCIfPfS2_EEviT0_iilT1_iilPi
	.p2align	8
	.type	_ZN9rocsolver6v33100L16stedc_reshuffleCIfPfS2_EEviT0_iilT1_iilPi,@function
_ZN9rocsolver6v33100L16stedc_reshuffleCIfPfS2_EEviT0_iilT1_iilPi: ; @_ZN9rocsolver6v33100L16stedc_reshuffleCIfPfS2_EEviT0_iilT1_iilPi
; %bb.0:
	s_clause 0x1
	s_load_b32 s2, s[0:1], 0x4c
	s_load_b32 s22, s[0:1], 0x0
	s_wait_kmcnt 0x0
	s_and_b32 s20, s2, 0xffff
	s_add_co_i32 s4, s22, -1
	s_lshl_b32 s21, s20, 4
	s_abs_i32 s5, s4
	s_cvt_f32_u32 s2, s21
	s_sub_co_i32 s3, 0, s21
	s_ashr_i32 s4, s4, 31
	s_delay_alu instid0(SALU_CYCLE_1) | instskip(SKIP_1) | instid1(TRANS32_DEP_1)
	v_rcp_iflag_f32_e32 v1, s2
	v_nop
	v_readfirstlane_b32 s2, v1
	s_mul_f32 s2, s2, 0x4f7ffffe
	s_delay_alu instid0(SALU_CYCLE_3) | instskip(NEXT) | instid1(SALU_CYCLE_3)
	s_cvt_u32_f32 s2, s2
	s_mul_i32 s3, s3, s2
	s_delay_alu instid0(SALU_CYCLE_1) | instskip(NEXT) | instid1(SALU_CYCLE_1)
	s_mul_hi_u32 s3, s2, s3
	s_add_co_i32 s2, s2, s3
	s_delay_alu instid0(SALU_CYCLE_1) | instskip(NEXT) | instid1(SALU_CYCLE_1)
	s_mul_hi_u32 s2, s5, s2
	s_mul_i32 s3, s2, s21
	s_delay_alu instid0(SALU_CYCLE_1)
	s_sub_co_i32 s3, s5, s3
	s_add_co_i32 s5, s2, 1
	s_sub_co_i32 s6, s3, s21
	s_cmp_ge_u32 s3, s21
	s_cselect_b32 s2, s5, s2
	s_cselect_b32 s3, s6, s3
	s_add_co_i32 s5, s2, 1
	s_cmp_ge_u32 s3, s21
	s_cselect_b32 s2, s5, s2
	s_delay_alu instid0(SALU_CYCLE_1) | instskip(NEXT) | instid1(SALU_CYCLE_1)
	s_xor_b32 s2, s2, s4
	s_sub_co_i32 s2, s2, s4
	s_delay_alu instid0(SALU_CYCLE_1)
	s_cmp_lt_i32 s2, 0
	s_cbranch_scc1 .LBB20_67
; %bb.1:
	s_bfe_u32 s3, ttmp6, 0x4000c
	s_clause 0x1
	s_load_b128 s[12:15], s[0:1], 0x30
	s_load_b64 s[18:19], s[0:1], 0x28
	s_add_co_i32 s3, s3, 1
	s_bfe_u32 s5, ttmp6, 0x40010
	s_and_b32 s4, ttmp6, 15
	s_mul_i32 s3, ttmp9, s3
	s_add_co_i32 s5, s5, 1
	s_add_co_i32 s3, s4, s3
	s_mul_i32 s4, ttmp7, s5
	s_bfe_u32 s5, ttmp6, 0x40004
	s_getreg_b32 s6, hwreg(HW_REG_IB_STS2, 6, 4)
	s_add_co_i32 s5, s5, s4
	s_cmp_eq_u32 s6, 0
	s_mul_i32 s26, s22, 10
	s_cselect_b32 s16, ttmp7, s5
	s_load_b256 s[4:11], s[0:1], 0x8
	s_mul_i32 s17, s16, s22
	s_cselect_b32 s24, ttmp9, s3
	s_wait_xcnt 0x0
	s_mul_i32 s0, s17, 13
	s_ashr_i32 s27, s26, 31
	s_ashr_i32 s1, s0, 31
	;; [unrolled: 1-line block ×3, first 2 shown]
	s_lshl_b64 s[0:1], s[0:1], 2
	s_ashr_i32 s17, s16, 31
	s_wait_kmcnt 0x0
	s_add_nc_u64 s[0:1], s[14:15], s[0:1]
	s_lshl_b64 s[14:15], s[26:27], 2
	s_mul_u64 s[12:13], s[12:13], s[16:17]
	s_add_nc_u64 s[0:1], s[0:1], s[14:15]
	s_lshl_b64 s[14:15], s[24:25], 2
	v_mov_b32_e32 v2, 0
	s_add_nc_u64 s[0:1], s[0:1], s[14:15]
	s_ashr_i32 s15, s18, 31
	s_load_b32 s3, s[0:1], 0x0
	s_mov_b32 s14, s18
	s_lshl_b64 s[12:13], s[12:13], 2
	s_mul_u64 s[8:9], s[8:9], s[16:17]
	s_wait_xcnt 0x0
	s_ashr_i32 s1, s6, 31
	s_mov_b32 s0, s6
	s_mul_i32 s16, s19, s24
	s_lshl_b64 s[8:9], s[8:9], 2
	s_lshl_b64 s[0:1], s[0:1], 2
	;; [unrolled: 1-line block ×3, first 2 shown]
	s_ashr_i32 s17, s16, 31
	s_add_nc_u64 s[4:5], s[4:5], s[8:9]
	s_add_nc_u64 s[8:9], s[10:11], s[12:13]
	v_dual_mov_b32 v1, v2 :: v_dual_mov_b32 v4, v2
	v_dual_mov_b32 v3, v2 :: v_dual_mov_b32 v6, v2
	;; [unrolled: 1-line block ×4, first 2 shown]
	s_wait_kmcnt 0x0
	s_mul_i32 s6, s3, s7
	v_dual_mov_b32 v9, v2 :: v_dual_mov_b32 v12, v2
	s_ashr_i32 s7, s6, 31
	v_dual_mov_b32 v11, v2 :: v_dual_mov_b32 v14, v2
	v_dual_mov_b32 v13, v2 :: v_dual_mov_b32 v16, v2
	v_mov_b32_e32 v15, v2
	s_lshl_b64 s[10:11], s[16:17], 2
	s_add_nc_u64 s[0:1], s[4:5], s[0:1]
	s_add_nc_u64 s[4:5], s[8:9], s[14:15]
	s_lshl_b64 s[6:7], s[6:7], 2
	s_add_nc_u64 s[16:17], s[4:5], s[10:11]
	s_add_nc_u64 s[18:19], s[0:1], s[6:7]
	s_add_co_i32 s15, s2, 1
	s_lshl_b32 s23, s20, 1
	s_mul_i32 s24, s20, 3
	s_lshl_b32 s25, s20, 2
	s_mul_i32 s26, s20, 5
	s_mul_i32 s27, s20, 6
	;; [unrolled: 1-line block ×3, first 2 shown]
	s_lshl_b32 s29, s20, 3
	s_mul_i32 s30, s20, 9
	s_mul_i32 s31, s20, 10
	;; [unrolled: 1-line block ×7, first 2 shown]
	s_branch .LBB20_3
.LBB20_2:                               ;   in Loop: Header=BB20_3 Depth=1
	s_wait_xcnt 0x0
	s_or_b32 exec_lo, exec_lo, s0
	v_add_nc_u32_e32 v0, s21, v0
	s_add_co_i32 s15, s15, -1
	s_delay_alu instid0(SALU_CYCLE_1)
	s_cmp_eq_u32 s15, 0
	s_cbranch_scc1 .LBB20_67
.LBB20_3:                               ; =>This Inner Loop Header: Depth=1
	s_delay_alu instid0(VALU_DEP_1)
	v_cmp_gt_i32_e32 vcc_lo, s22, v0
	s_and_saveexec_b32 s0, vcc_lo
	s_cbranch_execz .LBB20_5
; %bb.4:                                ;   in Loop: Header=BB20_3 Depth=1
	s_wait_loadcnt 0x0
	global_load_b32 v2, v0, s[18:19] scale_offset
.LBB20_5:                               ;   in Loop: Header=BB20_3 Depth=1
	s_wait_xcnt 0x0
	s_or_b32 exec_lo, exec_lo, s0
	v_add_nc_u32_e32 v17, s20, v0
	s_delay_alu instid0(VALU_DEP_1)
	v_cmp_gt_i32_e64 s0, s22, v17
	s_and_saveexec_b32 s1, s0
	s_cbranch_execz .LBB20_7
; %bb.6:                                ;   in Loop: Header=BB20_3 Depth=1
	s_wait_loadcnt 0x0
	global_load_b32 v1, v17, s[18:19] scale_offset
.LBB20_7:                               ;   in Loop: Header=BB20_3 Depth=1
	s_wait_xcnt 0x0
	s_or_b32 exec_lo, exec_lo, s1
	v_dual_add_nc_u32 v19, s20, v17 :: v_dual_add_nc_u32 v18, s23, v0
	s_delay_alu instid0(VALU_DEP_1)
	v_cmp_gt_i32_e64 s1, s22, v19
	s_and_saveexec_b32 s2, s1
	s_cbranch_execz .LBB20_9
; %bb.8:                                ;   in Loop: Header=BB20_3 Depth=1
	s_wait_loadcnt 0x0
	global_load_b32 v4, v18, s[18:19] scale_offset
.LBB20_9:                               ;   in Loop: Header=BB20_3 Depth=1
	s_wait_xcnt 0x0
	s_or_b32 exec_lo, exec_lo, s2
	v_dual_add_nc_u32 v20, s20, v19 :: v_dual_add_nc_u32 v19, s24, v0
	s_delay_alu instid0(VALU_DEP_1)
	v_cmp_gt_i32_e64 s2, s22, v20
	s_and_saveexec_b32 s3, s2
	s_cbranch_execz .LBB20_11
; %bb.10:                               ;   in Loop: Header=BB20_3 Depth=1
	s_wait_loadcnt 0x0
	global_load_b32 v3, v19, s[18:19] scale_offset
.LBB20_11:                              ;   in Loop: Header=BB20_3 Depth=1
	s_wait_xcnt 0x0
	s_or_b32 exec_lo, exec_lo, s3
	v_add_nc_u32_e32 v21, s20, v20
	v_add_nc_u32_e32 v20, s25, v0
	s_delay_alu instid0(VALU_DEP_2)
	v_cmp_gt_i32_e64 s3, s22, v21
	s_and_saveexec_b32 s4, s3
	s_cbranch_execz .LBB20_13
; %bb.12:                               ;   in Loop: Header=BB20_3 Depth=1
	s_wait_loadcnt 0x0
	global_load_b32 v6, v20, s[18:19] scale_offset
.LBB20_13:                              ;   in Loop: Header=BB20_3 Depth=1
	s_wait_xcnt 0x0
	s_or_b32 exec_lo, exec_lo, s4
	v_dual_add_nc_u32 v22, s20, v21 :: v_dual_add_nc_u32 v21, s26, v0
	s_delay_alu instid0(VALU_DEP_1)
	v_cmp_gt_i32_e64 s4, s22, v22
	s_and_saveexec_b32 s5, s4
	s_cbranch_execz .LBB20_15
; %bb.14:                               ;   in Loop: Header=BB20_3 Depth=1
	s_wait_loadcnt 0x0
	global_load_b32 v5, v21, s[18:19] scale_offset
.LBB20_15:                              ;   in Loop: Header=BB20_3 Depth=1
	s_wait_xcnt 0x0
	s_or_b32 exec_lo, exec_lo, s5
	v_dual_add_nc_u32 v23, s20, v22 :: v_dual_add_nc_u32 v22, s27, v0
	s_delay_alu instid0(VALU_DEP_1)
	v_cmp_gt_i32_e64 s5, s22, v23
	s_and_saveexec_b32 s6, s5
	s_cbranch_execz .LBB20_17
; %bb.16:                               ;   in Loop: Header=BB20_3 Depth=1
	s_wait_loadcnt 0x0
	global_load_b32 v8, v22, s[18:19] scale_offset
.LBB20_17:                              ;   in Loop: Header=BB20_3 Depth=1
	s_wait_xcnt 0x0
	s_or_b32 exec_lo, exec_lo, s6
	v_dual_add_nc_u32 v24, s20, v23 :: v_dual_add_nc_u32 v23, s28, v0
	s_delay_alu instid0(VALU_DEP_1)
	v_cmp_gt_i32_e64 s6, s22, v24
	s_and_saveexec_b32 s7, s6
	s_cbranch_execz .LBB20_19
; %bb.18:                               ;   in Loop: Header=BB20_3 Depth=1
	s_wait_loadcnt 0x0
	global_load_b32 v7, v23, s[18:19] scale_offset
.LBB20_19:                              ;   in Loop: Header=BB20_3 Depth=1
	s_wait_xcnt 0x0
	s_or_b32 exec_lo, exec_lo, s7
	v_add_nc_u32_e32 v25, s20, v24
	v_add_nc_u32_e32 v24, s29, v0
	s_delay_alu instid0(VALU_DEP_2)
	v_cmp_gt_i32_e64 s7, s22, v25
	s_and_saveexec_b32 s8, s7
	s_cbranch_execz .LBB20_21
; %bb.20:                               ;   in Loop: Header=BB20_3 Depth=1
	s_wait_loadcnt 0x0
	global_load_b32 v10, v24, s[18:19] scale_offset
.LBB20_21:                              ;   in Loop: Header=BB20_3 Depth=1
	s_wait_xcnt 0x0
	s_or_b32 exec_lo, exec_lo, s8
	v_dual_add_nc_u32 v26, s20, v25 :: v_dual_add_nc_u32 v25, s30, v0
	s_delay_alu instid0(VALU_DEP_1)
	v_cmp_gt_i32_e64 s8, s22, v26
	s_and_saveexec_b32 s9, s8
	s_cbranch_execz .LBB20_23
; %bb.22:                               ;   in Loop: Header=BB20_3 Depth=1
	s_wait_loadcnt 0x0
	global_load_b32 v9, v25, s[18:19] scale_offset
.LBB20_23:                              ;   in Loop: Header=BB20_3 Depth=1
	s_wait_xcnt 0x0
	s_or_b32 exec_lo, exec_lo, s9
	v_dual_add_nc_u32 v27, s20, v26 :: v_dual_add_nc_u32 v26, s31, v0
	s_delay_alu instid0(VALU_DEP_1)
	v_cmp_gt_i32_e64 s9, s22, v27
	s_and_saveexec_b32 s10, s9
	s_cbranch_execz .LBB20_25
; %bb.24:                               ;   in Loop: Header=BB20_3 Depth=1
	s_wait_loadcnt 0x0
	global_load_b32 v12, v26, s[18:19] scale_offset
.LBB20_25:                              ;   in Loop: Header=BB20_3 Depth=1
	;; [unrolled: 45-line block ×3, first 2 shown]
	s_wait_xcnt 0x0
	s_or_b32 exec_lo, exec_lo, s14
	v_dual_add_nc_u32 v32, s20, v31 :: v_dual_add_nc_u32 v31, s37, v0
	s_delay_alu instid0(VALU_DEP_1)
	v_cmp_gt_i32_e64 s14, s22, v32
	s_and_saveexec_b32 s38, s14
	s_cbranch_execnz .LBB20_50
; %bb.34:                               ;   in Loop: Header=BB20_3 Depth=1
	s_or_b32 exec_lo, exec_lo, s38
	s_and_saveexec_b32 s38, vcc_lo
	s_cbranch_execnz .LBB20_51
.LBB20_35:                              ;   in Loop: Header=BB20_3 Depth=1
	s_or_b32 exec_lo, exec_lo, s38
	s_and_saveexec_b32 s38, s0
	s_cbranch_execnz .LBB20_52
.LBB20_36:                              ;   in Loop: Header=BB20_3 Depth=1
	s_or_b32 exec_lo, exec_lo, s38
	s_and_saveexec_b32 s0, s1
	s_cbranch_execnz .LBB20_53
.LBB20_37:                              ;   in Loop: Header=BB20_3 Depth=1
	s_or_b32 exec_lo, exec_lo, s0
	s_and_saveexec_b32 s0, s2
	s_cbranch_execnz .LBB20_54
.LBB20_38:                              ;   in Loop: Header=BB20_3 Depth=1
	s_or_b32 exec_lo, exec_lo, s0
	s_and_saveexec_b32 s0, s3
	s_cbranch_execnz .LBB20_55
.LBB20_39:                              ;   in Loop: Header=BB20_3 Depth=1
	s_or_b32 exec_lo, exec_lo, s0
	s_and_saveexec_b32 s0, s4
	s_cbranch_execnz .LBB20_56
.LBB20_40:                              ;   in Loop: Header=BB20_3 Depth=1
	s_or_b32 exec_lo, exec_lo, s0
	s_and_saveexec_b32 s0, s5
	s_cbranch_execnz .LBB20_57
.LBB20_41:                              ;   in Loop: Header=BB20_3 Depth=1
	s_or_b32 exec_lo, exec_lo, s0
	s_and_saveexec_b32 s0, s6
	s_cbranch_execnz .LBB20_58
.LBB20_42:                              ;   in Loop: Header=BB20_3 Depth=1
	s_or_b32 exec_lo, exec_lo, s0
	s_and_saveexec_b32 s0, s7
	s_cbranch_execnz .LBB20_59
.LBB20_43:                              ;   in Loop: Header=BB20_3 Depth=1
	s_or_b32 exec_lo, exec_lo, s0
	s_and_saveexec_b32 s0, s8
	s_cbranch_execnz .LBB20_60
.LBB20_44:                              ;   in Loop: Header=BB20_3 Depth=1
	s_or_b32 exec_lo, exec_lo, s0
	s_and_saveexec_b32 s0, s9
	s_cbranch_execnz .LBB20_61
.LBB20_45:                              ;   in Loop: Header=BB20_3 Depth=1
	s_or_b32 exec_lo, exec_lo, s0
	s_and_saveexec_b32 s0, s10
	s_cbranch_execnz .LBB20_62
.LBB20_46:                              ;   in Loop: Header=BB20_3 Depth=1
	s_or_b32 exec_lo, exec_lo, s0
	s_and_saveexec_b32 s0, s11
	s_cbranch_execnz .LBB20_63
.LBB20_47:                              ;   in Loop: Header=BB20_3 Depth=1
	s_or_b32 exec_lo, exec_lo, s0
	s_and_saveexec_b32 s0, s12
	s_cbranch_execnz .LBB20_64
.LBB20_48:                              ;   in Loop: Header=BB20_3 Depth=1
	s_or_b32 exec_lo, exec_lo, s0
	s_and_saveexec_b32 s0, s13
	s_cbranch_execnz .LBB20_65
.LBB20_49:                              ;   in Loop: Header=BB20_3 Depth=1
	s_or_b32 exec_lo, exec_lo, s0
	s_and_saveexec_b32 s0, s14
	s_cbranch_execz .LBB20_2
	s_branch .LBB20_66
.LBB20_50:                              ;   in Loop: Header=BB20_3 Depth=1
	s_wait_loadcnt 0x0
	global_load_b32 v15, v31, s[18:19] scale_offset
	s_wait_xcnt 0x0
	s_or_b32 exec_lo, exec_lo, s38
	s_and_saveexec_b32 s38, vcc_lo
	s_cbranch_execz .LBB20_35
.LBB20_51:                              ;   in Loop: Header=BB20_3 Depth=1
	s_wait_loadcnt 0x0
	global_store_b32 v0, v2, s[16:17] scale_offset
	s_wait_xcnt 0x0
	s_or_b32 exec_lo, exec_lo, s38
	s_and_saveexec_b32 s38, s0
	s_cbranch_execz .LBB20_36
.LBB20_52:                              ;   in Loop: Header=BB20_3 Depth=1
	s_wait_loadcnt 0x0
	global_store_b32 v17, v1, s[16:17] scale_offset
	s_wait_xcnt 0x0
	s_or_b32 exec_lo, exec_lo, s38
	s_and_saveexec_b32 s0, s1
	s_cbranch_execz .LBB20_37
.LBB20_53:                              ;   in Loop: Header=BB20_3 Depth=1
	s_wait_loadcnt 0x0
	global_store_b32 v18, v4, s[16:17] scale_offset
	s_wait_xcnt 0x0
	s_or_b32 exec_lo, exec_lo, s0
	s_and_saveexec_b32 s0, s2
	s_cbranch_execz .LBB20_38
.LBB20_54:                              ;   in Loop: Header=BB20_3 Depth=1
	s_wait_loadcnt 0x0
	global_store_b32 v19, v3, s[16:17] scale_offset
	s_wait_xcnt 0x0
	s_or_b32 exec_lo, exec_lo, s0
	s_and_saveexec_b32 s0, s3
	s_cbranch_execz .LBB20_39
.LBB20_55:                              ;   in Loop: Header=BB20_3 Depth=1
	s_wait_loadcnt 0x0
	global_store_b32 v20, v6, s[16:17] scale_offset
	s_wait_xcnt 0x0
	s_or_b32 exec_lo, exec_lo, s0
	s_and_saveexec_b32 s0, s4
	s_cbranch_execz .LBB20_40
.LBB20_56:                              ;   in Loop: Header=BB20_3 Depth=1
	s_wait_loadcnt 0x0
	global_store_b32 v21, v5, s[16:17] scale_offset
	s_wait_xcnt 0x0
	s_or_b32 exec_lo, exec_lo, s0
	s_and_saveexec_b32 s0, s5
	s_cbranch_execz .LBB20_41
.LBB20_57:                              ;   in Loop: Header=BB20_3 Depth=1
	s_wait_loadcnt 0x0
	global_store_b32 v22, v8, s[16:17] scale_offset
	s_wait_xcnt 0x0
	s_or_b32 exec_lo, exec_lo, s0
	s_and_saveexec_b32 s0, s6
	s_cbranch_execz .LBB20_42
.LBB20_58:                              ;   in Loop: Header=BB20_3 Depth=1
	s_wait_loadcnt 0x0
	global_store_b32 v23, v7, s[16:17] scale_offset
	s_wait_xcnt 0x0
	s_or_b32 exec_lo, exec_lo, s0
	s_and_saveexec_b32 s0, s7
	s_cbranch_execz .LBB20_43
.LBB20_59:                              ;   in Loop: Header=BB20_3 Depth=1
	s_wait_loadcnt 0x0
	global_store_b32 v24, v10, s[16:17] scale_offset
	s_wait_xcnt 0x0
	s_or_b32 exec_lo, exec_lo, s0
	s_and_saveexec_b32 s0, s8
	s_cbranch_execz .LBB20_44
.LBB20_60:                              ;   in Loop: Header=BB20_3 Depth=1
	s_wait_loadcnt 0x0
	global_store_b32 v25, v9, s[16:17] scale_offset
	s_wait_xcnt 0x0
	s_or_b32 exec_lo, exec_lo, s0
	s_and_saveexec_b32 s0, s9
	s_cbranch_execz .LBB20_45
.LBB20_61:                              ;   in Loop: Header=BB20_3 Depth=1
	s_wait_loadcnt 0x0
	global_store_b32 v26, v12, s[16:17] scale_offset
	s_wait_xcnt 0x0
	s_or_b32 exec_lo, exec_lo, s0
	s_and_saveexec_b32 s0, s10
	s_cbranch_execz .LBB20_46
.LBB20_62:                              ;   in Loop: Header=BB20_3 Depth=1
	s_wait_loadcnt 0x0
	global_store_b32 v27, v11, s[16:17] scale_offset
	s_wait_xcnt 0x0
	s_or_b32 exec_lo, exec_lo, s0
	s_and_saveexec_b32 s0, s11
	s_cbranch_execz .LBB20_47
.LBB20_63:                              ;   in Loop: Header=BB20_3 Depth=1
	s_wait_loadcnt 0x0
	global_store_b32 v28, v14, s[16:17] scale_offset
	s_wait_xcnt 0x0
	s_or_b32 exec_lo, exec_lo, s0
	s_and_saveexec_b32 s0, s12
	s_cbranch_execz .LBB20_48
.LBB20_64:                              ;   in Loop: Header=BB20_3 Depth=1
	s_wait_loadcnt 0x0
	global_store_b32 v29, v13, s[16:17] scale_offset
	s_wait_xcnt 0x0
	s_or_b32 exec_lo, exec_lo, s0
	s_and_saveexec_b32 s0, s13
	s_cbranch_execz .LBB20_49
.LBB20_65:                              ;   in Loop: Header=BB20_3 Depth=1
	s_wait_loadcnt 0x0
	global_store_b32 v30, v16, s[16:17] scale_offset
	s_wait_xcnt 0x0
	s_or_b32 exec_lo, exec_lo, s0
	s_and_saveexec_b32 s0, s14
	s_cbranch_execz .LBB20_2
.LBB20_66:                              ;   in Loop: Header=BB20_3 Depth=1
	s_wait_loadcnt 0x0
	global_store_b32 v31, v15, s[16:17] scale_offset
	s_branch .LBB20_2
.LBB20_67:
	s_endpgm
	.section	.rodata,"a",@progbits
	.p2align	6, 0x0
	.amdhsa_kernel _ZN9rocsolver6v33100L16stedc_reshuffleCIfPfS2_EEviT0_iilT1_iilPi
		.amdhsa_group_segment_fixed_size 0
		.amdhsa_private_segment_fixed_size 0
		.amdhsa_kernarg_size 320
		.amdhsa_user_sgpr_count 2
		.amdhsa_user_sgpr_dispatch_ptr 0
		.amdhsa_user_sgpr_queue_ptr 0
		.amdhsa_user_sgpr_kernarg_segment_ptr 1
		.amdhsa_user_sgpr_dispatch_id 0
		.amdhsa_user_sgpr_kernarg_preload_length 0
		.amdhsa_user_sgpr_kernarg_preload_offset 0
		.amdhsa_user_sgpr_private_segment_size 0
		.amdhsa_wavefront_size32 1
		.amdhsa_uses_dynamic_stack 0
		.amdhsa_enable_private_segment 0
		.amdhsa_system_sgpr_workgroup_id_x 1
		.amdhsa_system_sgpr_workgroup_id_y 1
		.amdhsa_system_sgpr_workgroup_id_z 0
		.amdhsa_system_sgpr_workgroup_info 0
		.amdhsa_system_vgpr_workitem_id 0
		.amdhsa_next_free_vgpr 33
		.amdhsa_next_free_sgpr 39
		.amdhsa_named_barrier_count 0
		.amdhsa_reserve_vcc 1
		.amdhsa_float_round_mode_32 0
		.amdhsa_float_round_mode_16_64 0
		.amdhsa_float_denorm_mode_32 3
		.amdhsa_float_denorm_mode_16_64 3
		.amdhsa_fp16_overflow 0
		.amdhsa_memory_ordered 1
		.amdhsa_forward_progress 1
		.amdhsa_inst_pref_size 17
		.amdhsa_round_robin_scheduling 0
		.amdhsa_exception_fp_ieee_invalid_op 0
		.amdhsa_exception_fp_denorm_src 0
		.amdhsa_exception_fp_ieee_div_zero 0
		.amdhsa_exception_fp_ieee_overflow 0
		.amdhsa_exception_fp_ieee_underflow 0
		.amdhsa_exception_fp_ieee_inexact 0
		.amdhsa_exception_int_div_zero 0
	.end_amdhsa_kernel
	.section	.text._ZN9rocsolver6v33100L16stedc_reshuffleCIfPfS2_EEviT0_iilT1_iilPi,"axG",@progbits,_ZN9rocsolver6v33100L16stedc_reshuffleCIfPfS2_EEviT0_iilT1_iilPi,comdat
.Lfunc_end20:
	.size	_ZN9rocsolver6v33100L16stedc_reshuffleCIfPfS2_EEviT0_iilT1_iilPi, .Lfunc_end20-_ZN9rocsolver6v33100L16stedc_reshuffleCIfPfS2_EEviT0_iilT1_iilPi
                                        ; -- End function
	.set _ZN9rocsolver6v33100L16stedc_reshuffleCIfPfS2_EEviT0_iilT1_iilPi.num_vgpr, 33
	.set _ZN9rocsolver6v33100L16stedc_reshuffleCIfPfS2_EEviT0_iilT1_iilPi.num_agpr, 0
	.set _ZN9rocsolver6v33100L16stedc_reshuffleCIfPfS2_EEviT0_iilT1_iilPi.numbered_sgpr, 39
	.set _ZN9rocsolver6v33100L16stedc_reshuffleCIfPfS2_EEviT0_iilT1_iilPi.num_named_barrier, 0
	.set _ZN9rocsolver6v33100L16stedc_reshuffleCIfPfS2_EEviT0_iilT1_iilPi.private_seg_size, 0
	.set _ZN9rocsolver6v33100L16stedc_reshuffleCIfPfS2_EEviT0_iilT1_iilPi.uses_vcc, 1
	.set _ZN9rocsolver6v33100L16stedc_reshuffleCIfPfS2_EEviT0_iilT1_iilPi.uses_flat_scratch, 0
	.set _ZN9rocsolver6v33100L16stedc_reshuffleCIfPfS2_EEviT0_iilT1_iilPi.has_dyn_sized_stack, 0
	.set _ZN9rocsolver6v33100L16stedc_reshuffleCIfPfS2_EEviT0_iilT1_iilPi.has_recursion, 0
	.set _ZN9rocsolver6v33100L16stedc_reshuffleCIfPfS2_EEviT0_iilT1_iilPi.has_indirect_call, 0
	.section	.AMDGPU.csdata,"",@progbits
; Kernel info:
; codeLenInByte = 2164
; TotalNumSgprs: 41
; NumVgprs: 33
; ScratchSize: 0
; MemoryBound: 0
; FloatMode: 240
; IeeeMode: 1
; LDSByteSize: 0 bytes/workgroup (compile time only)
; SGPRBlocks: 0
; VGPRBlocks: 2
; NumSGPRsForWavesPerEU: 41
; NumVGPRsForWavesPerEU: 33
; NamedBarCnt: 0
; Occupancy: 16
; WaveLimiterHint : 1
; COMPUTE_PGM_RSRC2:SCRATCH_EN: 0
; COMPUTE_PGM_RSRC2:USER_SGPR: 2
; COMPUTE_PGM_RSRC2:TRAP_HANDLER: 0
; COMPUTE_PGM_RSRC2:TGID_X_EN: 1
; COMPUTE_PGM_RSRC2:TGID_Y_EN: 1
; COMPUTE_PGM_RSRC2:TGID_Z_EN: 0
; COMPUTE_PGM_RSRC2:TIDIG_COMP_CNT: 0
	.section	.text._ZN9rocsolver6v33100L30stedc_mergeValues_Solve_kernelIfEEviiPT_lS3_lS3_S3_PiS2_S2_S2_,"axG",@progbits,_ZN9rocsolver6v33100L30stedc_mergeValues_Solve_kernelIfEEviiPT_lS3_lS3_S3_PiS2_S2_S2_,comdat
	.globl	_ZN9rocsolver6v33100L30stedc_mergeValues_Solve_kernelIfEEviiPT_lS3_lS3_S3_PiS2_S2_S2_ ; -- Begin function _ZN9rocsolver6v33100L30stedc_mergeValues_Solve_kernelIfEEviiPT_lS3_lS3_S3_PiS2_S2_S2_
	.p2align	8
	.type	_ZN9rocsolver6v33100L30stedc_mergeValues_Solve_kernelIfEEviiPT_lS3_lS3_S3_PiS2_S2_S2_,@function
_ZN9rocsolver6v33100L30stedc_mergeValues_Solve_kernelIfEEviiPT_lS3_lS3_S3_PiS2_S2_S2_: ; @_ZN9rocsolver6v33100L30stedc_mergeValues_Solve_kernelIfEEviiPT_lS3_lS3_S3_PiS2_S2_S2_
; %bb.0:
	s_clause 0x1
	s_load_b32 s4, s[0:1], 0x5c
	s_load_b32 s2, s[0:1], 0x4
	s_bfe_u32 s3, ttmp6, 0x4000c
	s_and_b32 s5, ttmp6, 15
	s_add_co_i32 s6, s3, 1
	s_getreg_b32 s3, hwreg(HW_REG_IB_STS2, 6, 4)
	s_mul_i32 s6, ttmp9, s6
	s_delay_alu instid0(SALU_CYCLE_1) | instskip(SKIP_4) | instid1(SALU_CYCLE_1)
	s_add_co_i32 s5, s5, s6
	s_wait_kmcnt 0x0
	s_and_b32 s4, s4, 0xffff
	s_cmp_eq_u32 s3, 0
	s_cselect_b32 s5, ttmp9, s5
	v_mad_u32 v0, s5, s4, v0
	s_mov_b32 s4, exec_lo
	s_delay_alu instid0(VALU_DEP_1)
	v_cmpx_gt_i32_e64 s2, v0
	s_cbranch_execz .LBB21_209
; %bb.1:
	s_load_b64 s[6:7], s[0:1], 0x38
	s_bfe_u32 s4, ttmp6, 0x40010
	s_bfe_u32 s5, ttmp6, 0x40004
	s_add_co_i32 s4, s4, 1
	s_mul_i32 s10, s2, 6
	s_mul_i32 s4, ttmp7, s4
	s_delay_alu instid0(SALU_CYCLE_1)
	s_add_co_i32 s5, s5, s4
	s_cmp_eq_u32 s3, 0
	s_cselect_b32 s3, ttmp7, s5
	s_ashr_i32 s11, s10, 31
	s_mul_i32 s4, s2, s3
	s_ashr_i32 s3, s2, 31
	s_mul_i32 s8, s4, 13
	s_delay_alu instid0(SALU_CYCLE_1) | instskip(NEXT) | instid1(SALU_CYCLE_1)
	s_ashr_i32 s9, s8, 31
	s_lshl_b64 s[8:9], s[8:9], 2
	s_wait_kmcnt 0x0
	s_add_nc_u64 s[6:7], s[6:7], s[8:9]
	s_lshl_b64 s[8:9], s[10:11], 2
	s_delay_alu instid0(SALU_CYCLE_1)
	s_add_nc_u64 s[6:7], s[6:7], s[8:9]
	s_lshl_b64 s[8:9], s[2:3], 2
	global_load_b32 v20, v0, s[6:7] scale_offset
	s_wait_xcnt 0x0
	s_add_nc_u64 s[6:7], s[6:7], s[8:9]
	global_load_b32 v28, v0, s[6:7] scale_offset
	s_wait_loadcnt 0x1
	v_sub_nc_u32_e32 v26, v0, v20
	s_wait_loadcnt 0x0
	s_delay_alu instid0(VALU_DEP_1)
	v_cmp_lt_i32_e32 vcc_lo, v26, v28
	s_and_b32 exec_lo, exec_lo, vcc_lo
	s_cbranch_execz .LBB21_209
; %bb.2:
	s_clause 0x1
	s_load_b128 s[8:11], s[0:1], 0x28
	s_load_b32 s24, s[0:1], 0x40
	v_mul_lo_u32 v24, v0, s2
	s_mul_i32 s6, s4, 10
	s_mul_i32 s4, s4, s2
	s_lshl_b32 s12, s2, 3
	s_ashr_i32 s7, s6, 31
	s_lshl_b32 s16, s4, 1
	s_ashr_i32 s13, s12, 31
	s_lshl_b64 s[20:21], s[6:7], 2
	s_ashr_i32 s17, s16, 31
	s_mov_b64 s[14:15], 0xffffffffffffffe4
	s_mul_i32 s18, s2, s2
	s_mov_b32 s19, 0
	s_lshl_b64 s[22:23], s[12:13], 2
	s_lshl_b64 s[6:7], s[16:17], 2
	v_ashrrev_i32_e32 v25, 31, v24
	s_wait_xcnt 0x0
	s_mul_u64 s[0:1], s[2:3], s[14:15]
	s_lshl_b64 s[14:15], s[18:19], 2
	v_dual_ashrrev_i32 v1, 31, v0 :: v_dual_ashrrev_i32 v27, 31, v26
	s_wait_kmcnt 0x0
	s_add_nc_u64 s[4:5], s[8:9], s[20:21]
	s_add_nc_u64 s[26:27], s[10:11], s[6:7]
	;; [unrolled: 1-line block ×3, first 2 shown]
	s_lshl_b64 s[2:3], s[2:3], 5
	s_add_nc_u64 s[12:13], s[4:5], s[0:1]
	s_add_nc_u64 s[0:1], s[26:27], s[14:15]
	v_ashrrev_i32_e32 v21, 31, v20
	v_lshl_add_u64 v[2:3], v[24:25], 2, s[0:1]
	s_add_nc_u64 s[0:1], s[12:13], s[2:3]
	v_add_nc_u32_e32 v8, -1, v28
	v_lshl_add_u64 v[6:7], v[0:1], 2, s[0:1]
                                        ; implicit-def: $vgpr38
	s_mov_b32 s0, exec_lo
	v_lshl_add_u64 v[4:5], v[26:27], 2, v[2:3]
	global_load_b32 v44, v[6:7], off
	global_load_b32 v10, v[4:5], off
	s_wait_xcnt 0x1
	v_lshl_add_u64 v[6:7], v[20:21], 2, s[4:5]
	s_wait_xcnt 0x0
	v_cmpx_ne_u32_e64 v26, v8
	s_xor_b32 s25, exec_lo, s0
	s_cbranch_execz .LBB21_132
; %bb.3:
	global_load_b32 v11, v[4:5], off offset:4
	s_mov_b32 s0, exec_lo
	s_wait_loadcnt 0x0
	v_dual_mov_b32 v19, 0 :: v_dual_add_f32 v9, v10, v11
	s_delay_alu instid0(VALU_DEP_1)
	v_mul_f32_e32 v18, 0.5, v9
	v_cmpx_lt_i32_e32 0, v26
	s_cbranch_execz .LBB21_7
; %bb.4:
	v_mov_b64_e32 v[12:13], v[6:7]
	v_mov_b64_e32 v[14:15], v[2:3]
	v_dual_mov_b32 v19, 0 :: v_dual_mov_b32 v9, v26
	s_mov_b32 s1, 0
.LBB21_5:                               ; =>This Inner Loop Header: Depth=1
	global_load_b32 v16, v[14:15], off
	global_load_b32 v17, v[12:13], off
	s_wait_xcnt 0x1
	v_add_nc_u64_e32 v[14:15], 4, v[14:15]
	s_wait_xcnt 0x0
	v_add_nc_u64_e32 v[12:13], 4, v[12:13]
	s_wait_loadcnt 0x1
	v_dual_sub_f32 v16, v16, v18 :: v_dual_add_nc_u32 v9, -1, v9
	s_wait_loadcnt 0x0
	s_delay_alu instid0(VALU_DEP_1) | instskip(NEXT) | instid1(VALU_DEP_1)
	v_div_scale_f32 v22, null, v16, v16, v17
	v_rcp_f32_e32 v23, v22
	v_nop
	s_delay_alu instid0(TRANS32_DEP_1) | instskip(NEXT) | instid1(VALU_DEP_1)
	v_fma_f32 v29, -v22, v23, 1.0
	v_fmac_f32_e32 v23, v29, v23
	v_div_scale_f32 v30, vcc_lo, v17, v16, v17
	s_delay_alu instid0(VALU_DEP_1) | instskip(NEXT) | instid1(VALU_DEP_1)
	v_mul_f32_e32 v29, v30, v23
	v_fma_f32 v31, -v22, v29, v30
	s_delay_alu instid0(VALU_DEP_1) | instskip(NEXT) | instid1(VALU_DEP_1)
	v_fmac_f32_e32 v29, v31, v23
	v_fma_f32 v22, -v22, v29, v30
	s_delay_alu instid0(VALU_DEP_1) | instskip(SKIP_1) | instid1(VALU_DEP_2)
	v_div_fmas_f32 v22, v22, v23, v29
	v_cmp_eq_u32_e32 vcc_lo, 0, v9
	v_div_fixup_f32 v16, v22, v16, v17
	s_or_b32 s1, vcc_lo, s1
	s_delay_alu instid0(VALU_DEP_1)
	v_fmac_f32_e32 v19, v17, v16
	s_and_not1_b32 exec_lo, exec_lo, s1
	s_cbranch_execnz .LBB21_5
; %bb.6:
	s_or_b32 exec_lo, exec_lo, s1
.LBB21_7:
	s_delay_alu instid0(SALU_CYCLE_1) | instskip(SKIP_3) | instid1(VALU_DEP_2)
	s_or_b32 exec_lo, exec_lo, s0
	v_dual_mov_b32 v13, 0 :: v_dual_add_nc_u32 v12, 1, v26
	v_ashrrev_i32_e32 v9, 31, v8
	s_mov_b32 s0, exec_lo
	v_cmpx_gt_i32_e64 v8, v12
	s_cbranch_execz .LBB21_11
; %bb.8:
	v_lshlrev_b64_e32 v[14:15], 2, v[24:25]
	v_lshlrev_b64_e32 v[16:17], 2, v[8:9]
	s_add_nc_u64 s[2:3], s[22:23], s[20:21]
	v_mov_b32_e32 v13, 0
	v_lshl_add_u64 v[22:23], v[20:21], 2, s[2:3]
	s_add_nc_u64 s[2:3], s[10:11], s[14:15]
	s_mov_b32 s1, 0
	v_lshl_add_u64 v[14:15], s[16:17], 2, v[14:15]
	s_delay_alu instid0(VALU_DEP_1) | instskip(SKIP_2) | instid1(VALU_DEP_3)
	v_add_nc_u64_e32 v[14:15], v[14:15], v[16:17]
	v_add_nc_u64_e32 v[16:17], v[22:23], v[16:17]
	v_mov_b32_e32 v22, v8
	v_add_nc_u64_e32 v[14:15], s[2:3], v[14:15]
	s_delay_alu instid0(VALU_DEP_3)
	v_add_nc_u64_e32 v[16:17], s[8:9], v[16:17]
.LBB21_9:                               ; =>This Inner Loop Header: Depth=1
	global_load_b32 v23, v[14:15], off
	global_load_b32 v29, v[16:17], off
	s_wait_xcnt 0x1
	v_add_nc_u64_e32 v[14:15], -4, v[14:15]
	s_wait_xcnt 0x0
	v_add_nc_u64_e32 v[16:17], -4, v[16:17]
	v_add_nc_u32_e32 v22, -1, v22
	s_wait_loadcnt 0x1
	v_sub_f32_e32 v23, v23, v18
	s_wait_loadcnt 0x0
	s_delay_alu instid0(VALU_DEP_1) | instskip(NEXT) | instid1(VALU_DEP_1)
	v_div_scale_f32 v30, null, v23, v23, v29
	v_rcp_f32_e32 v31, v30
	v_nop
	s_delay_alu instid0(TRANS32_DEP_1) | instskip(NEXT) | instid1(VALU_DEP_1)
	v_fma_f32 v32, -v30, v31, 1.0
	v_fmac_f32_e32 v31, v32, v31
	v_div_scale_f32 v33, vcc_lo, v29, v23, v29
	s_delay_alu instid0(VALU_DEP_1) | instskip(NEXT) | instid1(VALU_DEP_1)
	v_mul_f32_e32 v32, v33, v31
	v_fma_f32 v34, -v30, v32, v33
	s_delay_alu instid0(VALU_DEP_1) | instskip(NEXT) | instid1(VALU_DEP_1)
	v_fmac_f32_e32 v32, v34, v31
	v_fma_f32 v30, -v30, v32, v33
	s_delay_alu instid0(VALU_DEP_1) | instskip(SKIP_1) | instid1(VALU_DEP_2)
	v_div_fmas_f32 v30, v30, v31, v32
	v_cmp_le_i32_e32 vcc_lo, v22, v12
	v_div_fixup_f32 v23, v30, v23, v29
	s_or_b32 s1, vcc_lo, s1
	s_delay_alu instid0(VALU_DEP_1)
	v_fmac_f32_e32 v13, v29, v23
	s_and_not1_b32 exec_lo, exec_lo, s1
	s_cbranch_execnz .LBB21_9
; %bb.10:
	s_or_b32 exec_lo, exec_lo, s1
.LBB21_11:
	s_delay_alu instid0(SALU_CYCLE_1)
	s_or_b32 exec_lo, exec_lo, s0
	v_lshl_add_u64 v[14:15], v[26:27], 2, v[6:7]
	v_and_b32_e32 v18, 0x7fffffff, v44
                                        ; implicit-def: $vgpr38
                                        ; implicit-def: $vgpr40
	global_load_b64 v[16:17], v[14:15], off
	s_wait_loadcnt 0x0
	v_pk_mul_f32 v[30:31], v[16:17], v[16:17]
	v_div_scale_f32 v17, null, v18, v18, 1.0
	v_div_scale_f32 v18, vcc_lo, 1.0, v18, 1.0
	s_delay_alu instid0(VALU_DEP_2) | instskip(SKIP_1) | instid1(TRANS32_DEP_1)
	v_rcp_f32_e32 v23, v17
	v_nop
	v_fma_f32 v27, -v17, v23, 1.0
	s_delay_alu instid0(VALU_DEP_1) | instskip(NEXT) | instid1(VALU_DEP_1)
	v_fmac_f32_e32 v23, v27, v23
	v_dual_sub_f32 v22, v31, v30 :: v_dual_mul_f32 v32, v18, v23
	v_sub_f32_e32 v16, v11, v10
	s_delay_alu instid0(VALU_DEP_2) | instskip(NEXT) | instid1(VALU_DEP_1)
	v_dual_add_f32 v22, v22, v22 :: v_dual_fma_f32 v34, -v17, v32, v18
	v_div_scale_f32 v29, null, v16, v16, v22
	s_delay_alu instid0(VALU_DEP_1) | instskip(SKIP_1) | instid1(TRANS32_DEP_1)
	v_rcp_f32_e32 v27, v29
	v_nop
	v_fma_f32 v33, -v29, v27, 1.0
	s_delay_alu instid0(VALU_DEP_1) | instskip(SKIP_1) | instid1(VALU_DEP_1)
	v_fmac_f32_e32 v27, v33, v27
	v_div_scale_f32 v35, s0, v22, v16, v22
	v_mul_f32_e32 v33, v35, v27
	v_fmac_f32_e32 v32, v34, v23
	s_delay_alu instid0(VALU_DEP_1) | instskip(NEXT) | instid1(VALU_DEP_3)
	v_fma_f32 v17, -v17, v32, v18
	v_fma_f32 v18, -v29, v33, v35
	s_delay_alu instid0(VALU_DEP_2) | instskip(NEXT) | instid1(VALU_DEP_2)
	v_div_fmas_f32 v17, v17, v23, v32
	v_fmac_f32_e32 v33, v18, v27
	s_mov_b32 vcc_lo, s0
	s_delay_alu instid0(VALU_DEP_2) | instskip(NEXT) | instid1(VALU_DEP_1)
	v_div_fixup_f32 v18, v17, |v44|, 1.0
	v_add_f32_e32 v19, v18, v19
	s_delay_alu instid0(VALU_DEP_1) | instskip(NEXT) | instid1(VALU_DEP_1)
	v_add_f32_e32 v19, v19, v13
	v_dual_fma_f32 v17, -v29, v33, v35 :: v_dual_mul_f32 v23, v16, v19
	s_delay_alu instid0(VALU_DEP_1) | instskip(NEXT) | instid1(VALU_DEP_1)
	v_div_fmas_f32 v17, v17, v27, v33
	v_div_fixup_f32 v13, v17, v16, v22
                                        ; implicit-def: $vgpr17
	s_delay_alu instid0(VALU_DEP_1) | instskip(NEXT) | instid1(VALU_DEP_1)
	v_add_f32_e32 v13, v19, v13
	v_cmp_lt_f32_e64 s0, 0, v13
	v_cmp_nlt_f32_e64 s1, 0, v13
	s_and_saveexec_b32 s2, s1
	s_delay_alu instid0(SALU_CYCLE_1)
	s_xor_b32 s3, exec_lo, s2
	s_cbranch_execz .LBB21_17
; %bb.12:
	v_dual_mul_f32 v13, v16, v31 :: v_dual_sub_f32 v17, v23, v30
	s_delay_alu instid0(VALU_DEP_1) | instskip(NEXT) | instid1(VALU_DEP_1)
	v_dual_mul_f32 v23, 4.0, v13 :: v_dual_sub_f32 v22, v17, v31
	v_mul_f32_e32 v17, v19, v23
	s_delay_alu instid0(VALU_DEP_1) | instskip(NEXT) | instid1(VALU_DEP_1)
	v_fmac_f32_e32 v17, v22, v22
	v_mul_f32_e64 v23, 0x4f800000, |v17|
	v_cmp_gt_f32_e64 vcc_lo, 0xf800000, |v17|
	s_delay_alu instid0(VALU_DEP_1) | instskip(NEXT) | instid1(VALU_DEP_1)
	v_cndmask_b32_e64 v17, |v17|, v23, vcc_lo
	v_sqrt_f32_e32 v23, v17
	v_nop
	s_delay_alu instid0(TRANS32_DEP_1) | instskip(NEXT) | instid1(VALU_DEP_1)
	v_dual_add_nc_u32 v26, -1, v23 :: v_dual_add_nc_u32 v27, 1, v23
	v_dual_fma_f32 v29, -v26, v23, v17 :: v_dual_fma_f32 v30, -v27, v23, v17
	s_delay_alu instid0(VALU_DEP_1) | instskip(NEXT) | instid1(VALU_DEP_1)
	v_cmp_ge_f32_e64 s2, 0, v29
	v_cndmask_b32_e64 v23, v23, v26, s2
	s_delay_alu instid0(VALU_DEP_3) | instskip(NEXT) | instid1(VALU_DEP_1)
	v_cmp_lt_f32_e64 s2, 0, v30
	v_cndmask_b32_e64 v23, v23, v27, s2
	s_mov_b32 s2, exec_lo
	s_delay_alu instid0(VALU_DEP_1) | instskip(NEXT) | instid1(VALU_DEP_1)
	v_mul_f32_e32 v26, 0x37800000, v23
	v_cndmask_b32_e32 v23, v23, v26, vcc_lo
	v_cmp_class_f32_e64 vcc_lo, v17, 0x260
	s_delay_alu instid0(VALU_DEP_2)
	v_cndmask_b32_e32 v23, v23, v17, vcc_lo
                                        ; implicit-def: $vgpr17
	v_cmpx_ngt_f32_e32 0, v22
	s_xor_b32 s2, exec_lo, s2
	s_cbranch_execz .LBB21_14
; %bb.13:
	s_delay_alu instid0(VALU_DEP_2) | instskip(SKIP_1) | instid1(VALU_DEP_1)
	v_add_f32_e32 v13, v22, v23
	v_add_f32_e32 v17, v19, v19
	v_div_scale_f32 v19, null, v17, v17, -v13
	s_delay_alu instid0(VALU_DEP_1) | instskip(SKIP_1) | instid1(TRANS32_DEP_1)
	v_rcp_f32_e32 v22, v19
	v_nop
	v_fma_f32 v23, -v19, v22, 1.0
	s_delay_alu instid0(VALU_DEP_1) | instskip(SKIP_1) | instid1(VALU_DEP_1)
	v_fmac_f32_e32 v22, v23, v22
	v_div_scale_f32 v23, vcc_lo, -v13, v17, -v13
	v_mul_f32_e32 v26, v23, v22
	s_delay_alu instid0(VALU_DEP_1) | instskip(NEXT) | instid1(VALU_DEP_1)
	v_fma_f32 v27, -v19, v26, v23
	v_fmac_f32_e32 v26, v27, v22
	s_delay_alu instid0(VALU_DEP_1) | instskip(NEXT) | instid1(VALU_DEP_1)
	v_fma_f32 v19, -v19, v26, v23
                                        ; implicit-def: $vgpr23
	v_div_fmas_f32 v19, v19, v22, v26
                                        ; implicit-def: $vgpr22
	s_delay_alu instid0(VALU_DEP_1)
	v_div_fixup_f32 v17, v19, v17, -v13
                                        ; implicit-def: $vgpr13
.LBB21_14:
	s_and_not1_saveexec_b32 s2, s2
	s_cbranch_execz .LBB21_16
; %bb.15:
	v_dual_add_f32 v13, v13, v13 :: v_dual_sub_f32 v17, v22, v23
	s_delay_alu instid0(VALU_DEP_1) | instskip(NEXT) | instid1(VALU_DEP_1)
	v_div_scale_f32 v19, null, v17, v17, v13
	v_rcp_f32_e32 v22, v19
	v_nop
	s_delay_alu instid0(TRANS32_DEP_1) | instskip(NEXT) | instid1(VALU_DEP_1)
	v_fma_f32 v23, -v19, v22, 1.0
	v_fmac_f32_e32 v22, v23, v22
	v_div_scale_f32 v23, vcc_lo, v13, v17, v13
	s_delay_alu instid0(VALU_DEP_1) | instskip(NEXT) | instid1(VALU_DEP_1)
	v_mul_f32_e32 v26, v23, v22
	v_fma_f32 v27, -v19, v26, v23
	s_delay_alu instid0(VALU_DEP_1) | instskip(NEXT) | instid1(VALU_DEP_1)
	v_fmac_f32_e32 v26, v27, v22
	v_fma_f32 v19, -v19, v26, v23
	s_delay_alu instid0(VALU_DEP_1) | instskip(NEXT) | instid1(VALU_DEP_1)
	v_div_fmas_f32 v19, v19, v22, v26
	v_div_fixup_f32 v17, v19, v17, v13
.LBB21_16:
	s_or_b32 exec_lo, exec_lo, s2
	s_delay_alu instid0(VALU_DEP_1)
	v_dual_mul_f32 v40, -0.5, v16 :: v_dual_add_f32 v38, v11, v17
                                        ; implicit-def: $vgpr23
                                        ; implicit-def: $vgpr30_vgpr31
                                        ; implicit-def: $vgpr19
                                        ; implicit-def: $vgpr26
.LBB21_17:
	s_or_saveexec_b32 s3, s3
	v_dual_mov_b32 v41, 0 :: v_dual_mov_b32 v22, v11
	s_xor_b32 exec_lo, exec_lo, s3
	s_cbranch_execz .LBB21_23
; %bb.18:
	v_add_f32_e32 v17, v23, v30
	s_delay_alu instid0(VALU_DEP_1) | instskip(NEXT) | instid1(VALU_DEP_1)
	v_pk_mul_f32 v[12:13], v[16:17], v[30:31]
	v_dual_add_f32 v13, v17, v31 :: v_dual_mul_f32 v17, -4.0, v12
	s_delay_alu instid0(VALU_DEP_1) | instskip(NEXT) | instid1(VALU_DEP_1)
	v_mul_f32_e32 v22, v13, v13
	v_fmac_f32_e32 v22, v19, v17
	s_delay_alu instid0(VALU_DEP_1) | instskip(SKIP_1) | instid1(VALU_DEP_1)
	v_mul_f32_e64 v17, 0x4f800000, |v22|
	v_cmp_gt_f32_e64 vcc_lo, 0xf800000, |v22|
	v_cndmask_b32_e64 v17, |v22|, v17, vcc_lo
	s_delay_alu instid0(VALU_DEP_1) | instskip(SKIP_1) | instid1(TRANS32_DEP_1)
	v_sqrt_f32_e32 v22, v17
	v_nop
	v_dual_add_nc_u32 v23, -1, v22 :: v_dual_add_nc_u32 v27, 1, v22
	s_delay_alu instid0(VALU_DEP_1) | instskip(NEXT) | instid1(VALU_DEP_2)
	v_fma_f32 v29, -v23, v22, v17
	v_fma_f32 v30, -v27, v22, v17
	s_delay_alu instid0(VALU_DEP_2) | instskip(NEXT) | instid1(VALU_DEP_1)
	v_cmp_ge_f32_e64 s2, 0, v29
	v_cndmask_b32_e64 v22, v22, v23, s2
	s_delay_alu instid0(VALU_DEP_3) | instskip(NEXT) | instid1(VALU_DEP_1)
	v_cmp_lt_f32_e64 s2, 0, v30
	v_cndmask_b32_e64 v22, v22, v27, s2
	s_mov_b32 s2, exec_lo
	s_delay_alu instid0(VALU_DEP_1) | instskip(NEXT) | instid1(VALU_DEP_1)
	v_mul_f32_e32 v23, 0x37800000, v22
	v_cndmask_b32_e32 v22, v22, v23, vcc_lo
	v_cmp_class_f32_e64 vcc_lo, v17, 0x260
	s_delay_alu instid0(VALU_DEP_2)
	v_cndmask_b32_e32 v22, v22, v17, vcc_lo
                                        ; implicit-def: $vgpr17
	v_cmpx_nlt_f32_e32 0, v13
	s_xor_b32 s2, exec_lo, s2
	s_cbranch_execz .LBB21_20
; %bb.19:
	s_delay_alu instid0(VALU_DEP_2) | instskip(NEXT) | instid1(VALU_DEP_1)
	v_dual_sub_f32 v12, v13, v22 :: v_dual_add_f32 v13, v19, v19
	v_div_scale_f32 v17, null, v13, v13, v12
	s_delay_alu instid0(VALU_DEP_1) | instskip(SKIP_1) | instid1(TRANS32_DEP_1)
	v_rcp_f32_e32 v19, v17
	v_nop
	v_fma_f32 v22, -v17, v19, 1.0
	s_delay_alu instid0(VALU_DEP_1) | instskip(SKIP_1) | instid1(VALU_DEP_1)
	v_fmac_f32_e32 v19, v22, v19
	v_div_scale_f32 v22, vcc_lo, v12, v13, v12
	v_mul_f32_e32 v23, v22, v19
	s_delay_alu instid0(VALU_DEP_1) | instskip(NEXT) | instid1(VALU_DEP_1)
	v_fma_f32 v27, -v17, v23, v22
	v_fmac_f32_e32 v23, v27, v19
	s_delay_alu instid0(VALU_DEP_1) | instskip(NEXT) | instid1(VALU_DEP_1)
	v_fma_f32 v17, -v17, v23, v22
                                        ; implicit-def: $vgpr22
	v_div_fmas_f32 v17, v17, v19, v23
	s_delay_alu instid0(VALU_DEP_1)
	v_div_fixup_f32 v17, v17, v13, v12
                                        ; implicit-def: $vgpr12_vgpr13
                                        ; implicit-def: $vgpr13
.LBB21_20:
	s_and_not1_saveexec_b32 s2, s2
	s_cbranch_execz .LBB21_22
; %bb.21:
	v_dual_add_f32 v12, v12, v12 :: v_dual_add_f32 v13, v13, v22
	s_delay_alu instid0(VALU_DEP_1) | instskip(NEXT) | instid1(VALU_DEP_1)
	v_div_scale_f32 v17, null, v13, v13, v12
	v_rcp_f32_e32 v19, v17
	v_nop
	s_delay_alu instid0(TRANS32_DEP_1) | instskip(NEXT) | instid1(VALU_DEP_1)
	v_fma_f32 v22, -v17, v19, 1.0
	v_fmac_f32_e32 v19, v22, v19
	v_div_scale_f32 v22, vcc_lo, v12, v13, v12
	s_delay_alu instid0(VALU_DEP_1) | instskip(NEXT) | instid1(VALU_DEP_1)
	v_mul_f32_e32 v23, v22, v19
	v_fma_f32 v27, -v17, v23, v22
	s_delay_alu instid0(VALU_DEP_1) | instskip(NEXT) | instid1(VALU_DEP_1)
	v_fmac_f32_e32 v23, v27, v19
	v_fma_f32 v17, -v17, v23, v22
	s_delay_alu instid0(VALU_DEP_1) | instskip(NEXT) | instid1(VALU_DEP_1)
	v_div_fmas_f32 v17, v17, v19, v23
	v_div_fixup_f32 v17, v17, v13, v12
.LBB21_22:
	s_or_b32 exec_lo, exec_lo, s2
	s_delay_alu instid0(VALU_DEP_1)
	v_dual_mul_f32 v41, 0.5, v16 :: v_dual_add_f32 v38, v10, v17
	v_dual_mov_b32 v40, 0 :: v_dual_mov_b32 v12, v26
	v_mov_b32_e32 v22, v10
.LBB21_23:
	s_or_b32 exec_lo, exec_lo, s3
	s_mov_b32 s4, -1
	s_mov_b32 s2, exec_lo
	v_cmpx_lt_i32_e32 -1, v12
	s_cbranch_execz .LBB21_31
; %bb.24:
	v_dual_mov_b32 v26, 0 :: v_dual_add_nc_u32 v13, 1, v12
	s_mov_b32 s3, exec_lo
	v_cmpx_ne_u32_e32 0, v12
	s_cbranch_execz .LBB21_28
; %bb.25:
	s_delay_alu instid0(VALU_DEP_2) | instskip(SKIP_2) | instid1(VALU_DEP_2)
	v_dual_mov_b32 v23, v22 :: v_dual_bitop2_b32 v26, -2, v13 bitop3:0x40
	v_mov_b64_e32 v[30:31], v[2:3]
	s_mov_b32 s4, 0
	v_mov_b32_e32 v19, v26
.LBB21_26:                              ; =>This Inner Loop Header: Depth=1
	global_load_b64 v[32:33], v[30:31], off
	v_add_nc_u32_e32 v19, -2, v19
	s_delay_alu instid0(VALU_DEP_1)
	v_cmp_eq_u32_e32 vcc_lo, 0, v19
	s_or_b32 s4, vcc_lo, s4
	s_wait_loadcnt 0x0
	v_pk_add_f32 v[32:33], v[32:33], v[22:23] neg_lo:[0,1] neg_hi:[0,1]
	global_store_b64 v[30:31], v[32:33], off
	s_wait_xcnt 0x0
	v_add_nc_u64_e32 v[30:31], 8, v[30:31]
	s_and_not1_b32 exec_lo, exec_lo, s4
	s_cbranch_execnz .LBB21_26
; %bb.27:
	s_or_b32 exec_lo, exec_lo, s4
	v_cmp_ne_u32_e32 vcc_lo, v13, v26
	s_or_not1_b32 s4, vcc_lo, exec_lo
.LBB21_28:
	s_or_b32 exec_lo, exec_lo, s3
	s_delay_alu instid0(SALU_CYCLE_1)
	s_and_b32 exec_lo, exec_lo, s4
	s_cbranch_execz .LBB21_31
; %bb.29:
	v_lshlrev_b64_e32 v[30:31], 2, v[24:25]
	v_dual_mov_b32 v27, 0 :: v_dual_sub_nc_u32 v13, v13, v26
	s_add_nc_u64 s[4:5], s[10:11], s[14:15]
	s_mov_b32 s3, 0
	s_delay_alu instid0(VALU_DEP_2) | instskip(NEXT) | instid1(VALU_DEP_1)
	v_lshl_add_u64 v[30:31], s[16:17], 2, v[30:31]
	v_lshl_add_u64 v[30:31], v[26:27], 2, v[30:31]
	s_delay_alu instid0(VALU_DEP_1)
	v_add_nc_u64_e32 v[30:31], s[4:5], v[30:31]
.LBB21_30:                              ; =>This Inner Loop Header: Depth=1
	global_load_b32 v19, v[30:31], off
	s_wait_loadcnt 0x0
	v_dual_add_nc_u32 v13, -1, v13 :: v_dual_sub_f32 v19, v19, v22
	s_delay_alu instid0(VALU_DEP_1) | instskip(SKIP_4) | instid1(SALU_CYCLE_1)
	v_cmp_eq_u32_e32 vcc_lo, 0, v13
	global_store_b32 v[30:31], v19, off
	s_wait_xcnt 0x0
	v_add_nc_u64_e32 v[30:31], 4, v[30:31]
	s_or_b32 s3, vcc_lo, s3
	s_and_not1_b32 exec_lo, exec_lo, s3
	s_cbranch_execnz .LBB21_30
.LBB21_31:
	s_or_b32 exec_lo, exec_lo, s2
	v_cmp_le_i32_e64 s4, v8, v12
	v_cmp_gt_i32_e64 s2, v8, v12
	s_and_saveexec_b32 s3, s2
	s_cbranch_execz .LBB21_39
; %bb.32:
	v_xad_u32 v13, v12, -1, v28
	v_mov_b32_e32 v26, v8
	s_mov_b32 s26, -1
	s_mov_b32 s5, exec_lo
	s_delay_alu instid0(VALU_DEP_2)
	v_cmpx_lt_u32_e32 1, v13
	s_cbranch_execz .LBB21_36
; %bb.33:
	v_dual_mov_b32 v23, v22 :: v_dual_bitop2_b32 v19, -2, v13 bitop3:0x40
	v_mov_b32_e32 v26, v8
	s_mov_b32 s26, 0
	s_delay_alu instid0(VALU_DEP_2)
	v_mov_b32_e32 v28, v19
.LBB21_34:                              ; =>This Inner Loop Header: Depth=1
	s_delay_alu instid0(VALU_DEP_1) | instskip(NEXT) | instid1(VALU_DEP_1)
	v_dual_ashrrev_i32 v27, 31, v26 :: v_dual_add_nc_u32 v28, -2, v28
	v_lshl_add_u64 v[30:31], v[26:27], 2, v[2:3]
	s_delay_alu instid0(VALU_DEP_2)
	v_cmp_eq_u32_e32 vcc_lo, 0, v28
	v_add_nc_u32_e32 v26, -2, v26
	global_load_b64 v[32:33], v[30:31], off offset:-4
	s_or_b32 s26, vcc_lo, s26
	s_wait_loadcnt 0x0
	v_pk_add_f32 v[32:33], v[32:33], v[22:23] neg_lo:[0,1] neg_hi:[0,1]
	global_store_b64 v[30:31], v[32:33], off offset:-4
	s_wait_xcnt 0x0
	s_and_not1_b32 exec_lo, exec_lo, s26
	s_cbranch_execnz .LBB21_34
; %bb.35:
	s_or_b32 exec_lo, exec_lo, s26
	v_cmp_ne_u32_e32 vcc_lo, v13, v19
	v_sub_nc_u32_e32 v26, v8, v19
	s_or_not1_b32 s26, vcc_lo, exec_lo
.LBB21_36:
	s_or_b32 exec_lo, exec_lo, s5
	s_delay_alu instid0(SALU_CYCLE_1)
	s_and_b32 exec_lo, exec_lo, s26
	s_cbranch_execz .LBB21_39
; %bb.37:
	v_ashrrev_i32_e32 v27, 31, v26
	s_mov_b32 s5, 0
	s_delay_alu instid0(VALU_DEP_1) | instskip(SKIP_1) | instid1(VALU_DEP_1)
	v_lshl_add_u64 v[28:29], v[26:27], 2, s[6:7]
	s_add_nc_u64 s[6:7], s[10:11], s[14:15]
	v_lshl_add_u64 v[28:29], v[24:25], 2, v[28:29]
	s_delay_alu instid0(VALU_DEP_1)
	v_add_nc_u64_e32 v[28:29], s[6:7], v[28:29]
.LBB21_38:                              ; =>This Inner Loop Header: Depth=1
	global_load_b32 v13, v[28:29], off
	v_add_nc_u32_e32 v26, -1, v26
	s_delay_alu instid0(VALU_DEP_1)
	v_cmp_le_i32_e32 vcc_lo, v26, v12
	s_or_b32 s5, vcc_lo, s5
	s_wait_loadcnt 0x0
	v_sub_f32_e32 v13, v13, v22
	global_store_b32 v[28:29], v13, off
	s_wait_xcnt 0x0
	v_add_nc_u64_e32 v[28:29], -4, v[28:29]
	s_and_not1_b32 exec_lo, exec_lo, s5
	s_cbranch_execnz .LBB21_38
.LBB21_39:
	s_or_b32 exec_lo, exec_lo, s3
	v_dual_ashrrev_i32 v13, 31, v12 :: v_dual_mov_b32 v33, 0
	v_cmp_lt_i32_e64 s3, 0, v12
	s_mov_b32 s6, 0
	v_lshl_add_u64 v[26:27], v[12:13], 2, v[2:3]
	v_dual_mov_b32 v23, v33 :: v_dual_mov_b32 v32, v33
	global_load_b32 v19, v[26:27], off
	s_wait_loadcnt 0x0
	v_sub_f32_e32 v19, v19, v17
	global_store_b32 v[26:27], v19, off
	s_wait_xcnt 0x0
	s_and_saveexec_b32 s5, s3
	s_cbranch_execz .LBB21_43
; %bb.40:
	v_dual_mov_b32 v19, 0 :: v_dual_mov_b32 v23, v12
	v_mov_b64_e32 v[28:29], v[6:7]
	v_mov_b64_e32 v[30:31], v[2:3]
	s_delay_alu instid0(VALU_DEP_3)
	v_dual_mov_b32 v32, 0 :: v_dual_mov_b32 v33, v19
.LBB21_41:                              ; =>This Inner Loop Header: Depth=1
	global_load_b32 v34, v[30:31], off
	s_wait_loadcnt 0x0
	v_dual_sub_f32 v34, v34, v17 :: v_dual_add_nc_u32 v23, -1, v23
	global_store_b32 v[30:31], v34, off
	global_load_b32 v35, v[28:29], off
	s_wait_xcnt 0x1
	v_add_nc_u64_e32 v[30:31], 4, v[30:31]
	s_wait_xcnt 0x0
	v_add_nc_u64_e32 v[28:29], 4, v[28:29]
	s_wait_loadcnt 0x0
	v_div_scale_f32 v36, null, v34, v34, v35
	v_div_scale_f32 v42, vcc_lo, v35, v34, v35
	s_delay_alu instid0(VALU_DEP_2) | instskip(SKIP_1) | instid1(TRANS32_DEP_1)
	v_rcp_f32_e32 v37, v36
	v_nop
	v_fma_f32 v39, -v36, v37, 1.0
	s_delay_alu instid0(VALU_DEP_1) | instskip(NEXT) | instid1(VALU_DEP_1)
	v_fmac_f32_e32 v37, v39, v37
	v_mul_f32_e32 v39, v42, v37
	s_delay_alu instid0(VALU_DEP_1) | instskip(NEXT) | instid1(VALU_DEP_1)
	v_fma_f32 v43, -v36, v39, v42
	v_fmac_f32_e32 v39, v43, v37
	s_delay_alu instid0(VALU_DEP_1) | instskip(NEXT) | instid1(VALU_DEP_1)
	v_fma_f32 v36, -v36, v39, v42
	v_div_fmas_f32 v36, v36, v37, v39
	v_cmp_eq_u32_e32 vcc_lo, 0, v23
	s_delay_alu instid0(VALU_DEP_2) | instskip(SKIP_1) | instid1(VALU_DEP_1)
	v_div_fixup_f32 v34, v36, v34, v35
	s_or_b32 s6, vcc_lo, s6
	v_pk_fma_f32 v[32:33], v[34:35], v[34:35], v[32:33] op_sel_hi:[1,0,1]
	s_delay_alu instid0(VALU_DEP_1)
	v_add_f32_e32 v19, v19, v33
	s_and_not1_b32 exec_lo, exec_lo, s6
	s_cbranch_execnz .LBB21_41
; %bb.42:
	s_or_b32 exec_lo, exec_lo, s6
	s_delay_alu instid0(VALU_DEP_1)
	v_and_b32_e32 v23, 0x7fffffff, v19
.LBB21_43:
	s_or_b32 exec_lo, exec_lo, s5
	v_mov_b32_e32 v37, 0
	s_delay_alu instid0(VALU_DEP_1)
	v_mov_b32_e32 v36, v37
	s_and_saveexec_b32 s5, s2
	s_cbranch_execz .LBB21_47
; %bb.44:
	v_lshlrev_b64_e32 v[28:29], 2, v[24:25]
	v_lshlrev_b64_e32 v[30:31], 2, v[8:9]
	s_add_nc_u64 s[6:7], s[22:23], s[20:21]
	v_dual_mov_b32 v36, 0 :: v_dual_mov_b32 v19, v8
	v_lshl_add_u64 v[34:35], v[20:21], 2, s[6:7]
	s_add_nc_u64 s[6:7], s[10:11], s[14:15]
	s_delay_alu instid0(VALU_DEP_4) | instskip(NEXT) | instid1(VALU_DEP_3)
	v_lshl_add_u64 v[28:29], s[16:17], 2, v[28:29]
	v_mov_b32_e32 v37, v36
	s_delay_alu instid0(VALU_DEP_2) | instskip(SKIP_1) | instid1(VALU_DEP_2)
	v_add_nc_u64_e32 v[28:29], v[28:29], v[30:31]
	v_add_nc_u64_e32 v[30:31], v[34:35], v[30:31]
	;; [unrolled: 1-line block ×3, first 2 shown]
	s_delay_alu instid0(VALU_DEP_2)
	v_add_nc_u64_e32 v[30:31], s[8:9], v[30:31]
	s_mov_b32 s6, 0
.LBB21_45:                              ; =>This Inner Loop Header: Depth=1
	global_load_b32 v34, v[28:29], off
	s_wait_loadcnt 0x0
	v_dual_sub_f32 v34, v34, v17 :: v_dual_add_nc_u32 v19, -1, v19
	global_store_b32 v[28:29], v34, off
	global_load_b32 v35, v[30:31], off
	s_wait_xcnt 0x1
	v_add_nc_u64_e32 v[28:29], -4, v[28:29]
	s_wait_xcnt 0x0
	v_add_nc_u64_e32 v[30:31], -4, v[30:31]
	s_wait_loadcnt 0x0
	v_div_scale_f32 v39, null, v34, v34, v35
	s_delay_alu instid0(VALU_DEP_1) | instskip(SKIP_1) | instid1(TRANS32_DEP_1)
	v_rcp_f32_e32 v42, v39
	v_nop
	v_fma_f32 v43, -v39, v42, 1.0
	s_delay_alu instid0(VALU_DEP_1) | instskip(SKIP_1) | instid1(VALU_DEP_1)
	v_fmac_f32_e32 v42, v43, v42
	v_div_scale_f32 v45, vcc_lo, v35, v34, v35
	v_mul_f32_e32 v43, v45, v42
	s_delay_alu instid0(VALU_DEP_1) | instskip(NEXT) | instid1(VALU_DEP_1)
	v_fma_f32 v46, -v39, v43, v45
	v_fmac_f32_e32 v43, v46, v42
	s_delay_alu instid0(VALU_DEP_1) | instskip(NEXT) | instid1(VALU_DEP_1)
	v_fma_f32 v39, -v39, v43, v45
	v_div_fmas_f32 v39, v39, v42, v43
	v_cmp_le_i32_e32 vcc_lo, v19, v12
	s_delay_alu instid0(VALU_DEP_2) | instskip(SKIP_1) | instid1(VALU_DEP_1)
	v_div_fixup_f32 v34, v39, v34, v35
	s_or_b32 s6, vcc_lo, s6
	v_pk_fma_f32 v[36:37], v[34:35], v[34:35], v[36:37] op_sel_hi:[1,0,1]
	s_delay_alu instid0(VALU_DEP_1)
	v_add_f32_e32 v23, v23, v37
	s_and_not1_b32 exec_lo, exec_lo, s6
	s_cbranch_execnz .LBB21_45
; %bb.46:
	s_or_b32 exec_lo, exec_lo, s6
.LBB21_47:
	s_delay_alu instid0(SALU_CYCLE_1)
	s_or_b32 exec_lo, exec_lo, s5
	v_lshl_add_u64 v[28:29], v[12:13], 2, v[6:7]
	s_mov_b32 s7, exec_lo
	global_load_b32 v42, v[26:27], off
	global_load_b32 v13, v[28:29], off
	v_sub_f32_e32 v43, v37, v33
	s_wait_loadcnt 0x0
	v_div_scale_f32 v19, null, v42, v42, v13
	s_delay_alu instid0(VALU_DEP_1) | instskip(SKIP_1) | instid1(TRANS32_DEP_1)
	v_rcp_f32_e32 v30, v19
	v_nop
	v_fma_f32 v31, -v19, v30, 1.0
	s_delay_alu instid0(VALU_DEP_1) | instskip(SKIP_1) | instid1(VALU_DEP_1)
	v_fmac_f32_e32 v30, v31, v30
	v_div_scale_f32 v31, vcc_lo, v13, v42, v13
	v_mul_f32_e32 v34, v31, v30
	s_delay_alu instid0(VALU_DEP_1) | instskip(NEXT) | instid1(VALU_DEP_1)
	v_fma_f32 v35, -v19, v34, v31
	v_fmac_f32_e32 v34, v35, v30
	s_delay_alu instid0(VALU_DEP_1) | instskip(NEXT) | instid1(VALU_DEP_1)
	v_fma_f32 v19, -v19, v34, v31
	v_div_fmas_f32 v19, v19, v30, v34
	v_mov_b64_e32 v[30:31], 0x4040000040000000
	v_pk_add_f32 v[34:35], v[32:33], v[36:37]
	s_delay_alu instid0(VALU_DEP_3) | instskip(NEXT) | instid1(VALU_DEP_1)
	v_div_fixup_f32 v39, v19, v42, v13
	v_mul_f32_e32 v19, v13, v39
	s_delay_alu instid0(VALU_DEP_1) | instskip(NEXT) | instid1(VALU_DEP_1)
	v_and_b32_e32 v19, 0x7fffffff, v19
	v_pk_mul_f32 v[30:31], v[18:19], v[30:31]
	v_fma_f32 v19, v39, v39, v34
	s_delay_alu instid0(VALU_DEP_2) | instskip(NEXT) | instid1(VALU_DEP_1)
	v_fmamk_f32 v32, v43, 0x41000000, v30
	v_dual_add_f32 v31, v32, v31 :: v_dual_add_f32 v32, v18, v33
	s_delay_alu instid0(VALU_DEP_1) | instskip(NEXT) | instid1(VALU_DEP_1)
	v_fma_f32 v31, |v17|, v19, v31
	v_dual_add_f32 v33, v32, v37 :: v_dual_add_f32 v23, v23, v31
	s_delay_alu instid0(VALU_DEP_1) | instskip(NEXT) | instid1(VALU_DEP_2)
	v_fmac_f32_e32 v33, v13, v39
	v_mul_f32_e32 v13, s24, v23
	s_wait_xcnt 0x0
	s_delay_alu instid0(VALU_DEP_1)
	v_cmpx_nle_f32_e64 |v33|, v13
	s_cbranch_execz .LBB21_131
; %bb.48:
	global_load_b64 v[36:37], v[4:5], off
                                        ; implicit-def: $vgpr23
	s_wait_xcnt 0x0
	s_and_saveexec_b32 s5, s1
	s_delay_alu instid0(SALU_CYCLE_1)
	s_xor_b32 s5, exec_lo, s5
	s_cbranch_execz .LBB21_50
; %bb.49:
	global_load_b32 v13, v[14:15], off offset:4
	s_wait_loadcnt 0x0
	v_mul_f32_e32 v23, v16, v13
	s_delay_alu instid0(VALU_DEP_1) | instskip(NEXT) | instid1(VALU_DEP_1)
	v_mul_f32_e32 v13, v13, v23
	v_div_scale_f32 v23, null, v37, v37, v13
	v_div_scale_f32 v35, vcc_lo, v13, v37, v13
	s_delay_alu instid0(VALU_DEP_2) | instskip(SKIP_1) | instid1(TRANS32_DEP_1)
	v_rcp_f32_e32 v31, v23
	v_nop
	v_fma_f32 v32, -v23, v31, 1.0
	s_delay_alu instid0(VALU_DEP_1) | instskip(NEXT) | instid1(VALU_DEP_1)
	v_fmac_f32_e32 v31, v32, v31
	v_mul_f32_e32 v32, v35, v31
	s_delay_alu instid0(VALU_DEP_1) | instskip(NEXT) | instid1(VALU_DEP_1)
	v_fma_f32 v38, -v23, v32, v35
	v_fmac_f32_e32 v32, v38, v31
	s_delay_alu instid0(VALU_DEP_1) | instskip(NEXT) | instid1(VALU_DEP_1)
	v_fma_f32 v23, -v23, v32, v35
	v_div_fmas_f32 v23, v23, v31, v32
	s_delay_alu instid0(VALU_DEP_1) | instskip(NEXT) | instid1(VALU_DEP_1)
	v_div_fixup_f32 v13, v23, v37, v13
	v_div_scale_f32 v23, null, v37, v37, v13
	s_delay_alu instid0(VALU_DEP_1) | instskip(SKIP_1) | instid1(TRANS32_DEP_1)
	v_rcp_f32_e32 v31, v23
	v_nop
	v_fma_f32 v32, -v23, v31, 1.0
	s_delay_alu instid0(VALU_DEP_1) | instskip(SKIP_1) | instid1(VALU_DEP_1)
	v_fmac_f32_e32 v31, v32, v31
	v_div_scale_f32 v32, vcc_lo, v13, v37, v13
	v_mul_f32_e32 v35, v32, v31
	s_delay_alu instid0(VALU_DEP_1) | instskip(NEXT) | instid1(VALU_DEP_1)
	v_fma_f32 v38, -v23, v35, v32
	v_fmac_f32_e32 v35, v38, v31
	s_delay_alu instid0(VALU_DEP_1) | instskip(NEXT) | instid1(VALU_DEP_1)
	v_fma_f32 v23, -v23, v35, v32
	v_div_fmas_f32 v23, v23, v31, v35
	v_fma_f32 v31, -v19, v36, v33
	s_delay_alu instid0(VALU_DEP_2) | instskip(NEXT) | instid1(VALU_DEP_1)
	v_div_fixup_f32 v13, v23, v37, v13
	v_sub_f32_e32 v23, v31, v13
.LBB21_50:
	s_wait_xcnt 0x0
	s_or_saveexec_b32 s5, s5
	v_sub_f32_e32 v13, v10, v11
	s_xor_b32 exec_lo, exec_lo, s5
	s_cbranch_execz .LBB21_52
; %bb.51:
	global_load_b32 v10, v[14:15], off
	s_wait_loadcnt 0x0
	v_mul_f32_e32 v11, v13, v10
	s_delay_alu instid0(VALU_DEP_1) | instskip(NEXT) | instid1(VALU_DEP_1)
	v_mul_f32_e32 v10, v10, v11
	v_div_scale_f32 v11, null, v36, v36, v10
	v_div_scale_f32 v32, vcc_lo, v10, v36, v10
	s_delay_alu instid0(VALU_DEP_2) | instskip(SKIP_1) | instid1(TRANS32_DEP_1)
	v_rcp_f32_e32 v23, v11
	v_nop
	v_fma_f32 v31, -v11, v23, 1.0
	s_delay_alu instid0(VALU_DEP_1) | instskip(NEXT) | instid1(VALU_DEP_1)
	v_fmac_f32_e32 v23, v31, v23
	v_mul_f32_e32 v31, v32, v23
	s_delay_alu instid0(VALU_DEP_1) | instskip(NEXT) | instid1(VALU_DEP_1)
	v_fma_f32 v35, -v11, v31, v32
	v_fmac_f32_e32 v31, v35, v23
	s_delay_alu instid0(VALU_DEP_1) | instskip(NEXT) | instid1(VALU_DEP_1)
	v_fma_f32 v11, -v11, v31, v32
	v_div_fmas_f32 v11, v11, v23, v31
	s_delay_alu instid0(VALU_DEP_1) | instskip(NEXT) | instid1(VALU_DEP_1)
	v_div_fixup_f32 v10, v11, v36, v10
	v_div_scale_f32 v11, null, v36, v36, v10
	s_delay_alu instid0(VALU_DEP_1) | instskip(SKIP_1) | instid1(TRANS32_DEP_1)
	v_rcp_f32_e32 v23, v11
	v_nop
	v_fma_f32 v31, -v11, v23, 1.0
	s_delay_alu instid0(VALU_DEP_1) | instskip(SKIP_1) | instid1(VALU_DEP_1)
	v_fmac_f32_e32 v23, v31, v23
	v_div_scale_f32 v31, vcc_lo, v10, v36, v10
	v_mul_f32_e32 v32, v31, v23
	s_delay_alu instid0(VALU_DEP_1) | instskip(NEXT) | instid1(VALU_DEP_1)
	v_fma_f32 v35, -v11, v32, v31
	v_fmac_f32_e32 v32, v35, v23
	s_delay_alu instid0(VALU_DEP_1) | instskip(NEXT) | instid1(VALU_DEP_1)
	v_fma_f32 v11, -v11, v32, v31
	v_div_fmas_f32 v11, v11, v23, v32
	v_fma_f32 v23, -v19, v37, v33
	s_delay_alu instid0(VALU_DEP_2) | instskip(NEXT) | instid1(VALU_DEP_1)
	v_div_fixup_f32 v10, v11, v36, v10
	v_sub_f32_e32 v23, v23, v10
.LBB21_52:
	s_wait_xcnt 0x0
	s_or_b32 exec_lo, exec_lo, s5
	s_wait_loadcnt 0x0
	v_dual_add_f32 v39, v36, v37 :: v_dual_mov_b32 v32, v36
	v_dual_mov_b32 v38, v37 :: v_dual_mov_b32 v46, v33
	s_mov_b32 s5, exec_lo
	s_delay_alu instid0(VALU_DEP_1) | instskip(NEXT) | instid1(VALU_DEP_1)
	v_pk_mul_f32 v[10:11], v[32:33], v[38:39]
	v_mul_f32_e32 v47, v19, v10
	s_delay_alu instid0(VALU_DEP_1)
	v_pk_mul_f32 v[10:11], v[10:11], v[46:47]
	v_pk_fma_f32 v[38:39], v[32:33], v[38:39], v[46:47] neg_lo:[0,0,1] neg_hi:[0,0,1]
                                        ; implicit-def: $vgpr32
	v_cmpx_neq_f32_e32 0, v23
	s_xor_b32 s6, exec_lo, s5
	s_cbranch_execz .LBB21_58
; %bb.53:
	s_delay_alu instid0(VALU_DEP_2) | instskip(NEXT) | instid1(VALU_DEP_1)
	v_dual_mul_f32 v11, v39, v39 :: v_dual_mul_f32 v31, -4.0, v10
	v_fmac_f32_e32 v11, v31, v23
	s_delay_alu instid0(VALU_DEP_1) | instskip(SKIP_1) | instid1(VALU_DEP_1)
	v_mul_f32_e64 v31, 0x4f800000, |v11|
	v_cmp_gt_f32_e64 vcc_lo, 0xf800000, |v11|
	v_cndmask_b32_e64 v11, |v11|, v31, vcc_lo
	s_delay_alu instid0(VALU_DEP_1) | instskip(SKIP_1) | instid1(TRANS32_DEP_1)
	v_sqrt_f32_e32 v31, v11
	v_nop
	v_dual_add_nc_u32 v32, -1, v31 :: v_dual_add_nc_u32 v34, 1, v31
	s_delay_alu instid0(VALU_DEP_1) | instskip(NEXT) | instid1(VALU_DEP_1)
	v_dual_fma_f32 v35, -v32, v31, v11 :: v_dual_fma_f32 v36, -v34, v31, v11
	v_cmp_ge_f32_e64 s5, 0, v35
	s_delay_alu instid0(VALU_DEP_1) | instskip(NEXT) | instid1(VALU_DEP_3)
	v_cndmask_b32_e64 v31, v31, v32, s5
	v_cmp_lt_f32_e64 s5, 0, v36
	s_delay_alu instid0(VALU_DEP_1) | instskip(SKIP_1) | instid1(VALU_DEP_1)
	v_cndmask_b32_e64 v31, v31, v34, s5
	s_mov_b32 s5, exec_lo
	v_mul_f32_e32 v32, 0x37800000, v31
	s_delay_alu instid0(VALU_DEP_1) | instskip(SKIP_1) | instid1(VALU_DEP_2)
	v_cndmask_b32_e32 v31, v31, v32, vcc_lo
	v_cmp_class_f32_e64 vcc_lo, v11, 0x260
                                        ; implicit-def: $vgpr32
	v_cndmask_b32_e32 v11, v31, v11, vcc_lo
	v_cmpx_ge_f32_e32 0, v39
	s_xor_b32 s5, exec_lo, s5
	s_cbranch_execz .LBB21_55
; %bb.54:
	s_delay_alu instid0(VALU_DEP_2) | instskip(SKIP_1) | instid1(VALU_DEP_1)
	v_sub_f32_e32 v10, v39, v11
	v_add_f32_e32 v11, v23, v23
                                        ; implicit-def: $vgpr38_vgpr39
	v_div_scale_f32 v23, null, v11, v11, v10
	s_delay_alu instid0(VALU_DEP_1) | instskip(SKIP_1) | instid1(TRANS32_DEP_1)
	v_rcp_f32_e32 v31, v23
	v_nop
	v_fma_f32 v32, -v23, v31, 1.0
	s_delay_alu instid0(VALU_DEP_1) | instskip(SKIP_1) | instid1(VALU_DEP_1)
	v_fmac_f32_e32 v31, v32, v31
	v_div_scale_f32 v32, vcc_lo, v10, v11, v10
	v_mul_f32_e32 v34, v32, v31
	s_delay_alu instid0(VALU_DEP_1) | instskip(NEXT) | instid1(VALU_DEP_1)
	v_fma_f32 v35, -v23, v34, v32
	v_fmac_f32_e32 v34, v35, v31
	s_delay_alu instid0(VALU_DEP_1) | instskip(NEXT) | instid1(VALU_DEP_1)
	v_fma_f32 v23, -v23, v34, v32
	v_div_fmas_f32 v23, v23, v31, v34
	s_delay_alu instid0(VALU_DEP_1)
	v_div_fixup_f32 v32, v23, v11, v10
                                        ; implicit-def: $vgpr10_vgpr11
                                        ; implicit-def: $vgpr11
.LBB21_55:
	s_and_not1_saveexec_b32 s5, s5
	s_cbranch_execz .LBB21_57
; %bb.56:
	v_dual_add_f32 v10, v10, v10 :: v_dual_add_f32 v11, v39, v11
	s_delay_alu instid0(VALU_DEP_1) | instskip(NEXT) | instid1(VALU_DEP_1)
	v_div_scale_f32 v23, null, v11, v11, v10
	v_rcp_f32_e32 v31, v23
	v_nop
	s_delay_alu instid0(TRANS32_DEP_1) | instskip(NEXT) | instid1(VALU_DEP_1)
	v_fma_f32 v32, -v23, v31, 1.0
	v_fmac_f32_e32 v31, v32, v31
	v_div_scale_f32 v32, vcc_lo, v10, v11, v10
	s_delay_alu instid0(VALU_DEP_1) | instskip(NEXT) | instid1(VALU_DEP_1)
	v_mul_f32_e32 v34, v32, v31
	v_fma_f32 v35, -v23, v34, v32
	s_delay_alu instid0(VALU_DEP_1) | instskip(NEXT) | instid1(VALU_DEP_1)
	v_fmac_f32_e32 v34, v35, v31
	v_fma_f32 v23, -v23, v34, v32
	s_delay_alu instid0(VALU_DEP_1) | instskip(NEXT) | instid1(VALU_DEP_1)
	v_div_fmas_f32 v23, v23, v31, v34
	v_div_fixup_f32 v32, v23, v11, v10
.LBB21_57:
	s_or_b32 exec_lo, exec_lo, s5
                                        ; implicit-def: $vgpr39
                                        ; implicit-def: $vgpr10_vgpr11
                                        ; implicit-def: $vgpr36_vgpr37
                                        ; implicit-def: $vgpr34_vgpr35
.LBB21_58:
	s_and_not1_saveexec_b32 s5, s6
	s_cbranch_execz .LBB21_66
; %bb.59:
	s_mov_b32 s6, exec_lo
	v_cmpx_eq_f32_e32 0, v39
	s_cbranch_execz .LBB21_65
; %bb.60:
                                        ; implicit-def: $vgpr39
	s_and_saveexec_b32 s26, s1
	s_delay_alu instid0(SALU_CYCLE_1)
	s_xor_b32 s26, exec_lo, s26
	s_cbranch_execz .LBB21_62
; %bb.61:
	global_load_b32 v35, v[14:15], off offset:4
	s_wait_loadcnt 0x0
	v_dual_mul_f32 v36, v36, v36 :: v_dual_mov_b32 v37, v35
	s_delay_alu instid0(VALU_DEP_1) | instskip(NEXT) | instid1(VALU_DEP_1)
	v_pk_mul_f32 v[34:35], v[34:35], v[36:37]
                                        ; implicit-def: $vgpr36_vgpr37
	v_add_f32_e32 v39, v34, v35
                                        ; implicit-def: $vgpr34_vgpr35
.LBB21_62:
	s_wait_xcnt 0x0
	s_and_not1_saveexec_b32 s26, s26
	s_cbranch_execz .LBB21_64
; %bb.63:
	global_load_b32 v35, v[14:15], off
	s_wait_loadcnt 0x0
	v_dual_mul_f32 v36, v37, v37 :: v_dual_mov_b32 v37, v35
	s_delay_alu instid0(VALU_DEP_1) | instskip(NEXT) | instid1(VALU_DEP_1)
	v_pk_mul_f32 v[34:35], v[34:35], v[36:37]
	v_add_f32_e32 v39, v34, v35
.LBB21_64:
	s_wait_xcnt 0x0
	s_or_b32 exec_lo, exec_lo, s26
.LBB21_65:
	s_delay_alu instid0(SALU_CYCLE_1) | instskip(NEXT) | instid1(VALU_DEP_1)
	s_or_b32 exec_lo, exec_lo, s6
	v_div_scale_f32 v11, null, v39, v39, v10
	s_delay_alu instid0(VALU_DEP_1) | instskip(SKIP_1) | instid1(TRANS32_DEP_1)
	v_rcp_f32_e32 v23, v11
	v_nop
	v_fma_f32 v31, -v11, v23, 1.0
	s_delay_alu instid0(VALU_DEP_1) | instskip(SKIP_1) | instid1(VALU_DEP_1)
	v_fmac_f32_e32 v23, v31, v23
	v_div_scale_f32 v31, vcc_lo, v10, v39, v10
	v_mul_f32_e32 v32, v31, v23
	s_delay_alu instid0(VALU_DEP_1) | instskip(NEXT) | instid1(VALU_DEP_1)
	v_fma_f32 v34, -v11, v32, v31
	v_fmac_f32_e32 v32, v34, v23
	s_delay_alu instid0(VALU_DEP_1) | instskip(NEXT) | instid1(VALU_DEP_1)
	v_fma_f32 v11, -v11, v32, v31
	v_div_fmas_f32 v11, v11, v23, v32
	s_delay_alu instid0(VALU_DEP_1)
	v_div_fixup_f32 v32, v11, v39, v10
.LBB21_66:
	s_or_b32 exec_lo, exec_lo, s5
	s_delay_alu instid0(VALU_DEP_1) | instskip(SKIP_1) | instid1(VALU_DEP_1)
	v_mul_f32_e32 v10, v33, v32
	s_mov_b32 s5, exec_lo
	v_cmpx_le_f32_e32 0, v10
	s_cbranch_execz .LBB21_68
; %bb.67:
	v_div_scale_f32 v10, null, v19, v19, -v33
	s_delay_alu instid0(VALU_DEP_1) | instskip(SKIP_1) | instid1(TRANS32_DEP_1)
	v_rcp_f32_e32 v11, v10
	v_nop
	v_fma_f32 v23, -v10, v11, 1.0
	s_delay_alu instid0(VALU_DEP_1) | instskip(SKIP_1) | instid1(VALU_DEP_1)
	v_fmac_f32_e32 v11, v23, v11
	v_div_scale_f32 v23, vcc_lo, -v33, v19, -v33
	v_mul_f32_e32 v31, v23, v11
	s_delay_alu instid0(VALU_DEP_1) | instskip(NEXT) | instid1(VALU_DEP_1)
	v_fma_f32 v32, -v10, v31, v23
	v_fmac_f32_e32 v31, v32, v11
	s_delay_alu instid0(VALU_DEP_1) | instskip(NEXT) | instid1(VALU_DEP_1)
	v_fma_f32 v10, -v10, v31, v23
	v_div_fmas_f32 v10, v10, v11, v31
	s_delay_alu instid0(VALU_DEP_1)
	v_div_fixup_f32 v32, v10, v19, -v33
.LBB21_68:
	s_or_b32 exec_lo, exec_lo, s5
	v_cmp_lt_f32_e32 vcc_lo, 0, v33
	v_cmp_lt_f32_e64 s5, v17, v41
	v_cmp_lt_f32_e64 s6, v40, v17
	v_add_f32_e32 v11, v17, v32
	s_and_b32 vcc_lo, vcc_lo, s5
	s_delay_alu instid0(SALU_CYCLE_1) | instskip(SKIP_1) | instid1(VALU_DEP_2)
	v_dual_cndmask_b32 v10, v40, v17, s6 :: v_dual_cndmask_b32 v19, v41, v17, vcc_lo
	v_cmp_nge_f32_e32 vcc_lo, 0, v33
	v_cndmask_b32_e32 v23, v10, v40, vcc_lo
	s_delay_alu instid0(VALU_DEP_3) | instskip(NEXT) | instid1(VALU_DEP_2)
	v_cmp_gt_f32_e32 vcc_lo, v11, v19
	v_cmp_lt_f32_e64 s5, v11, v23
	s_or_b32 s6, vcc_lo, s5
	s_delay_alu instid0(SALU_CYCLE_1)
	s_and_saveexec_b32 s5, s6
	s_cbranch_execz .LBB21_74
; %bb.69:
	s_mov_b32 s6, exec_lo
                                        ; implicit-def: $vgpr32
	v_cmpx_ngt_f32_e32 0, v33
	s_xor_b32 s6, exec_lo, s6
; %bb.70:
	v_sub_f32_e32 v10, v23, v17
	s_delay_alu instid0(VALU_DEP_1)
	v_mul_f32_e32 v32, 0.5, v10
; %bb.71:
	s_and_not1_saveexec_b32 s6, s6
; %bb.72:
	v_sub_f32_e32 v10, v19, v17
	s_delay_alu instid0(VALU_DEP_1)
	v_mul_f32_e32 v32, 0.5, v10
; %bb.73:
	s_or_b32 exec_lo, exec_lo, s6
.LBB21_74:
	s_delay_alu instid0(SALU_CYCLE_1) | instskip(NEXT) | instid1(VALU_DEP_1)
	s_or_b32 exec_lo, exec_lo, s5
	v_dual_mov_b32 v11, 0 :: v_dual_sub_f32 v31, v42, v32
	s_delay_alu instid0(VALU_DEP_1)
	v_dual_mov_b32 v10, v11 :: v_dual_mov_b32 v45, v11
	global_store_b32 v[26:27], v31, off
	s_wait_xcnt 0x0
	s_and_saveexec_b32 s5, s3
	s_cbranch_execz .LBB21_78
; %bb.75:
	v_dual_mov_b32 v31, 0 :: v_dual_mov_b32 v38, v12
	v_mov_b64_e32 v[34:35], v[6:7]
	v_mov_b64_e32 v[36:37], v[2:3]
	s_delay_alu instid0(VALU_DEP_3)
	v_dual_mov_b32 v10, 0 :: v_dual_mov_b32 v11, v31
	s_mov_b32 s6, 0
.LBB21_76:                              ; =>This Inner Loop Header: Depth=1
	global_load_b32 v39, v[36:37], off
	s_wait_loadcnt 0x0
	v_dual_sub_f32 v39, v39, v32 :: v_dual_add_nc_u32 v38, -1, v38
	global_store_b32 v[36:37], v39, off
	global_load_b32 v41, v[34:35], off
	s_wait_xcnt 0x1
	v_add_nc_u64_e32 v[36:37], 4, v[36:37]
	s_wait_xcnt 0x0
	v_add_nc_u64_e32 v[34:35], 4, v[34:35]
	s_wait_loadcnt 0x0
	v_div_scale_f32 v40, null, v39, v39, v41
	v_div_scale_f32 v45, vcc_lo, v41, v39, v41
	s_delay_alu instid0(VALU_DEP_2) | instskip(SKIP_1) | instid1(TRANS32_DEP_1)
	v_rcp_f32_e32 v42, v40
	v_nop
	v_fma_f32 v43, -v40, v42, 1.0
	s_delay_alu instid0(VALU_DEP_1) | instskip(NEXT) | instid1(VALU_DEP_1)
	v_fmac_f32_e32 v42, v43, v42
	v_mul_f32_e32 v43, v45, v42
	s_delay_alu instid0(VALU_DEP_1) | instskip(NEXT) | instid1(VALU_DEP_1)
	v_fma_f32 v46, -v40, v43, v45
	v_fmac_f32_e32 v43, v46, v42
	s_delay_alu instid0(VALU_DEP_1) | instskip(NEXT) | instid1(VALU_DEP_1)
	v_fma_f32 v40, -v40, v43, v45
	v_div_fmas_f32 v40, v40, v42, v43
	v_cmp_eq_u32_e32 vcc_lo, 0, v38
	s_delay_alu instid0(VALU_DEP_2) | instskip(SKIP_1) | instid1(VALU_DEP_1)
	v_div_fixup_f32 v40, v40, v39, v41
	s_or_b32 s6, vcc_lo, s6
	v_pk_fma_f32 v[10:11], v[40:41], v[40:41], v[10:11] op_sel_hi:[1,0,1]
	s_delay_alu instid0(VALU_DEP_1)
	v_add_f32_e32 v31, v31, v11
	s_and_not1_b32 exec_lo, exec_lo, s6
	s_cbranch_execnz .LBB21_76
; %bb.77:
	s_or_b32 exec_lo, exec_lo, s6
	s_delay_alu instid0(VALU_DEP_1)
	v_and_b32_e32 v45, 0x7fffffff, v31
.LBB21_78:
	s_or_b32 exec_lo, exec_lo, s5
                                        ; implicit-def: $vgpr42_vgpr43
                                        ; implicit-def: $vgpr40_vgpr41
	s_and_saveexec_b32 s5, s4
	s_delay_alu instid0(SALU_CYCLE_1)
	s_xor_b32 s4, exec_lo, s5
	s_cbranch_execz .LBB21_80
; %bb.79:
	v_lshlrev_b64_e32 v[24:25], 2, v[24:25]
	v_lshlrev_b64_e32 v[34:35], 2, v[8:9]
	s_add_nc_u64 s[26:27], s[22:23], s[20:21]
	s_delay_alu instid0(SALU_CYCLE_1) | instskip(NEXT) | instid1(VALU_DEP_3)
	v_lshl_add_u64 v[20:21], v[20:21], 2, s[26:27]
	v_lshl_add_u64 v[24:25], s[16:17], 2, v[24:25]
	s_delay_alu instid0(VALU_DEP_2) | instskip(NEXT) | instid1(VALU_DEP_2)
	v_add_nc_u64_e32 v[40:41], v[20:21], v[34:35]
                                        ; implicit-def: $vgpr20_vgpr21
	v_add_nc_u64_e32 v[24:25], v[24:25], v[34:35]
	s_delay_alu instid0(VALU_DEP_1)
	v_lshl_add_u64 v[42:43], s[18:19], 2, v[24:25]
                                        ; implicit-def: $vgpr24_vgpr25
.LBB21_80:
	s_or_saveexec_b32 s4, s4
	v_mov_b32_e32 v37, 0
	s_delay_alu instid0(VALU_DEP_1)
	v_mov_b32_e32 v36, v37
	s_xor_b32 exec_lo, exec_lo, s4
	s_cbranch_execz .LBB21_84
; %bb.81:
	v_lshlrev_b64_e32 v[24:25], 2, v[24:25]
	v_lshlrev_b64_e32 v[34:35], 2, v[8:9]
	s_add_nc_u64 s[20:21], s[22:23], s[20:21]
	v_dual_mov_b32 v36, 0 :: v_dual_mov_b32 v9, v8
	v_lshl_add_u64 v[20:21], v[20:21], 2, s[20:21]
	s_mov_b32 s5, 0
	s_delay_alu instid0(VALU_DEP_4) | instskip(NEXT) | instid1(VALU_DEP_3)
	v_lshl_add_u64 v[24:25], s[16:17], 2, v[24:25]
	v_mov_b32_e32 v37, v36
	s_delay_alu instid0(VALU_DEP_3) | instskip(NEXT) | instid1(VALU_DEP_3)
	v_add_nc_u64_e32 v[40:41], v[20:21], v[34:35]
	v_add_nc_u64_e32 v[24:25], v[24:25], v[34:35]
	s_delay_alu instid0(VALU_DEP_1) | instskip(NEXT) | instid1(VALU_DEP_3)
	v_lshl_add_u64 v[42:43], s[18:19], 2, v[24:25]
	v_add_nc_u64_e32 v[24:25], s[8:9], v[40:41]
	s_delay_alu instid0(VALU_DEP_2)
	v_add_nc_u64_e32 v[20:21], s[10:11], v[42:43]
.LBB21_82:                              ; =>This Inner Loop Header: Depth=1
	global_load_b32 v31, v[20:21], off
	s_wait_loadcnt 0x0
	v_dual_add_nc_u32 v9, -1, v9 :: v_dual_sub_f32 v31, v31, v32
	global_store_b32 v[20:21], v31, off
	global_load_b32 v35, v[24:25], off
	s_wait_xcnt 0x1
	v_add_nc_u64_e32 v[20:21], -4, v[20:21]
	s_wait_xcnt 0x0
	v_add_nc_u64_e32 v[24:25], -4, v[24:25]
	s_wait_loadcnt 0x0
	v_div_scale_f32 v34, null, v31, v31, v35
	v_div_scale_f32 v46, vcc_lo, v35, v31, v35
	s_delay_alu instid0(VALU_DEP_2) | instskip(SKIP_1) | instid1(TRANS32_DEP_1)
	v_rcp_f32_e32 v38, v34
	v_nop
	v_fma_f32 v39, -v34, v38, 1.0
	s_delay_alu instid0(VALU_DEP_1) | instskip(NEXT) | instid1(VALU_DEP_1)
	v_fmac_f32_e32 v38, v39, v38
	v_mul_f32_e32 v39, v46, v38
	s_delay_alu instid0(VALU_DEP_1) | instskip(NEXT) | instid1(VALU_DEP_1)
	v_fma_f32 v47, -v34, v39, v46
	v_fmac_f32_e32 v39, v47, v38
	s_delay_alu instid0(VALU_DEP_1) | instskip(NEXT) | instid1(VALU_DEP_1)
	v_fma_f32 v34, -v34, v39, v46
	v_div_fmas_f32 v34, v34, v38, v39
	v_cmp_le_i32_e32 vcc_lo, v9, v12
	s_delay_alu instid0(VALU_DEP_2) | instskip(SKIP_1) | instid1(VALU_DEP_1)
	v_div_fixup_f32 v34, v34, v31, v35
	s_or_b32 s5, vcc_lo, s5
	v_pk_fma_f32 v[36:37], v[34:35], v[34:35], v[36:37] op_sel_hi:[1,0,1]
	s_delay_alu instid0(VALU_DEP_1)
	v_add_f32_e32 v45, v45, v37
	s_and_not1_b32 exec_lo, exec_lo, s5
	s_cbranch_execnz .LBB21_82
; %bb.83:
	s_or_b32 exec_lo, exec_lo, s5
.LBB21_84:
	s_delay_alu instid0(SALU_CYCLE_1) | instskip(SKIP_4) | instid1(VALU_DEP_1)
	s_or_b32 exec_lo, exec_lo, s4
	global_load_b32 v39, v[28:29], off
	global_load_b32 v31, v[26:27], off
	v_and_b32_e32 v25, 0x7fffffff, v33
	s_mov_b32 s6, 0
	v_div_scale_f32 v46, null, 0x41200000, 0x41200000, v25
	v_div_scale_f32 v48, s4, v25, 0x41200000, v25
	s_delay_alu instid0(VALU_DEP_2) | instskip(SKIP_1) | instid1(TRANS32_DEP_1)
	v_rcp_f32_e32 v47, v46
	v_nop
	v_fma_f32 v35, -v46, v47, 1.0
	s_delay_alu instid0(VALU_DEP_1) | instskip(NEXT) | instid1(VALU_DEP_1)
	v_fmac_f32_e32 v47, v35, v47
	v_mul_f32_e32 v49, v48, v47
	s_wait_loadcnt 0x0
	v_div_scale_f32 v9, null, v31, v31, v39
	v_div_scale_f32 v24, vcc_lo, v39, v31, v39
	s_delay_alu instid0(VALU_DEP_2) | instskip(SKIP_1) | instid1(TRANS32_DEP_1)
	v_rcp_f32_e32 v20, v9
	v_nop
	v_fma_f32 v21, -v9, v20, 1.0
	s_delay_alu instid0(VALU_DEP_1) | instskip(NEXT) | instid1(VALU_DEP_1)
	v_fmac_f32_e32 v20, v21, v20
	v_mul_f32_e32 v34, v24, v20
	s_delay_alu instid0(VALU_DEP_1) | instskip(NEXT) | instid1(VALU_DEP_1)
	v_fma_f32 v21, -v9, v34, v24
	v_dual_fmac_f32 v34, v21, v20 :: v_dual_add_f32 v21, v18, v11
	v_sub_f32_e32 v11, v37, v11
	s_delay_alu instid0(VALU_DEP_2) | instskip(NEXT) | instid1(VALU_DEP_1)
	v_fma_f32 v9, -v9, v34, v24
	v_div_fmas_f32 v9, v9, v20, v34
	v_mov_b32_e32 v20, v10
	s_mov_b32 vcc_lo, s4
	s_delay_alu instid0(VALU_DEP_2) | instskip(NEXT) | instid1(VALU_DEP_2)
	v_div_fixup_f32 v38, v9, v31, v39
	v_pk_add_f32 v[20:21], v[20:21], v[36:37]
	v_dual_add_f32 v9, v17, v32 :: v_dual_fma_f32 v17, -v46, v49, v48
	v_fmamk_f32 v11, v11, 0x41000000, v30
	s_delay_alu instid0(VALU_DEP_4) | instskip(NEXT) | instid1(VALU_DEP_4)
	v_pk_mul_f32 v[24:25], v[38:39], v[38:39] op_sel_hi:[1,0]
	v_pk_fma_f32 v[34:35], v[38:39], v[38:39], v[20:21] op_sel_hi:[1,0,1]
	v_mov_b32_e32 v21, 0x40400000
	v_and_b32_e32 v24, 0x7fffffff, v9
	s_delay_alu instid0(VALU_DEP_4) | instskip(NEXT) | instid1(VALU_DEP_4)
	v_and_b32_e32 v25, 0x7fffffff, v25
	v_mov_b32_e32 v20, v34
	s_delay_alu instid0(VALU_DEP_1) | instskip(SKIP_2) | instid1(VALU_DEP_3)
	v_pk_mul_f32 v[24:25], v[24:25], v[20:21]
	v_fmac_f32_e32 v49, v17, v47
	v_cndmask_b32_e64 v20, v35, -v35, s0
	v_add_f32_e32 v11, v11, v25
	s_delay_alu instid0(VALU_DEP_1) | instskip(NEXT) | instid1(VALU_DEP_1)
	v_dual_fma_f32 v17, -v46, v49, v48 :: v_dual_add_f32 v11, v24, v11
	v_div_fmas_f32 v17, v17, v47, v49
	v_add_nc_u64_e32 v[24:25], s[10:11], v[42:43]
	s_delay_alu instid0(VALU_DEP_3) | instskip(NEXT) | instid1(VALU_DEP_3)
	v_add_f32_e32 v11, v45, v11
	v_div_fixup_f32 v17, v17, 0x41200000, |v33|
	v_add_nc_u64_e32 v[32:33], s[8:9], v[40:41]
	s_mov_b32 s8, 1
                                        ; implicit-def: $sgpr9
	s_delay_alu instid0(VALU_DEP_2)
	v_cmp_gt_f32_e64 s18, v20, v17
	s_branch .LBB21_87
.LBB21_85:                              ;   in Loop: Header=BB21_87 Depth=1
	s_or_b32 exec_lo, exec_lo, s4
	global_load_b32 v39, v[28:29], off
	global_load_b32 v31, v[26:27], off
	v_and_b32_e32 v40, 0x7fffffff, v35
	s_add_co_i32 s8, s8, 1
	v_add_f32_e32 v9, v9, v17
	s_delay_alu instid0(VALU_DEP_2) | instskip(SKIP_1) | instid1(VALU_DEP_2)
	v_div_scale_f32 v42, null, 0x41200000, 0x41200000, v40
	v_div_scale_f32 v48, s4, v40, 0x41200000, v40
	v_rcp_f32_e32 v45, v42
	s_wait_loadcnt 0x0
	v_div_scale_f32 v20, null, v31, v31, v39
	v_div_scale_f32 v43, vcc_lo, v39, v31, v39
	s_delay_alu instid0(VALU_DEP_2) | instskip(SKIP_1) | instid1(TRANS32_DEP_1)
	v_rcp_f32_e32 v38, v20
	v_nop
	v_fma_f32 v41, -v20, v38, 1.0
	s_delay_alu instid0(VALU_DEP_1) | instskip(SKIP_1) | instid1(VALU_DEP_1)
	v_fmac_f32_e32 v38, v41, v38
	v_fma_f32 v41, -v42, v45, 1.0
	v_dual_fmac_f32 v45, v41, v45 :: v_dual_mul_f32 v46, v43, v38
	s_delay_alu instid0(VALU_DEP_1) | instskip(NEXT) | instid1(VALU_DEP_1)
	v_dual_add_f32 v41, v18, v11 :: v_dual_fma_f32 v47, -v20, v46, v43
	v_dual_fmac_f32 v46, v47, v38 :: v_dual_mul_f32 v47, v48, v45
	s_delay_alu instid0(VALU_DEP_1) | instskip(SKIP_1) | instid1(VALU_DEP_2)
	v_dual_fma_f32 v20, -v20, v46, v43 :: v_dual_fma_f32 v43, -v42, v47, v48
	v_mov_b32_e32 v40, v10
	v_div_fmas_f32 v20, v20, v38, v46
	s_delay_alu instid0(VALU_DEP_3) | instskip(NEXT) | instid1(VALU_DEP_3)
	v_fmac_f32_e32 v47, v43, v45
	v_pk_add_f32 v[40:41], v[40:41], v[36:37]
	s_mov_b32 vcc_lo, s4
	s_delay_alu instid0(VALU_DEP_3) | instskip(NEXT) | instid1(VALU_DEP_1)
	v_div_fixup_f32 v38, v20, v31, v39
	v_pk_fma_f32 v[40:41], v[38:39], v[38:39], v[40:41] op_sel_hi:[1,0,1]
	v_fma_f32 v17, -v42, v47, v48
	v_pk_mul_f32 v[42:43], v[38:39], v[38:39] op_sel_hi:[1,0]
	v_sub_f32_e32 v11, v37, v11
	v_and_b32_e32 v42, 0x7fffffff, v9
	v_mov_b32_e32 v20, v40
	v_div_fmas_f32 v17, v17, v45, v47
	v_and_b32_e32 v43, 0x7fffffff, v43
	s_delay_alu instid0(VALU_DEP_2) | instskip(SKIP_2) | instid1(VALU_DEP_4)
	v_div_fixup_f32 v17, v17, 0x41200000, |v35|
	v_mul_f32_e32 v35, v35, v41
	v_fmamk_f32 v11, v11, 0x41000000, v30
	v_pk_mul_f32 v[42:43], v[42:43], v[20:21]
	s_delay_alu instid0(VALU_DEP_4) | instskip(NEXT) | instid1(VALU_DEP_4)
	v_cmp_gt_f32_e64 s4, |v41|, v17
	v_cmp_lt_f32_e32 vcc_lo, 0, v35
	s_delay_alu instid0(VALU_DEP_3) | instskip(SKIP_1) | instid1(VALU_DEP_1)
	v_add_f32_e32 v11, v11, v43
	s_and_b32 s4, vcc_lo, s4
	v_add_f32_e32 v11, v42, v11
	s_xor_b32 s4, s18, s4
	s_cmp_eq_u32 s8, 50
                                        ; implicit-def: $sgpr18
	s_cselect_b32 s5, -1, 0
	s_delay_alu instid0(VALU_DEP_1) | instskip(SKIP_3) | instid1(SALU_CYCLE_1)
	v_add_f32_e32 v11, v34, v11
	v_mov_b64_e32 v[34:35], v[40:41]
	s_and_not1_b32 s9, s9, exec_lo
	s_and_b32 s5, s5, exec_lo
	s_or_b32 s9, s9, s5
.LBB21_86:                              ;   in Loop: Header=BB21_87 Depth=1
	s_wait_xcnt 0x0
	s_or_b32 exec_lo, exec_lo, s19
	s_delay_alu instid0(SALU_CYCLE_1) | instskip(NEXT) | instid1(SALU_CYCLE_1)
	s_and_b32 s5, exec_lo, s9
	s_or_b32 s6, s5, s6
	s_and_not1_b32 s5, s18, exec_lo
	s_and_b32 s4, s4, exec_lo
	s_delay_alu instid0(SALU_CYCLE_1)
	s_or_b32 s18, s5, s4
	s_and_not1_b32 exec_lo, exec_lo, s6
	s_cbranch_execz .LBB21_130
.LBB21_87:                              ; =>This Loop Header: Depth=1
                                        ;     Child Loop BB21_124 Depth 2
                                        ;     Child Loop BB21_128 Depth 2
	v_mul_f32_e32 v11, s24, v11
	s_or_b32 s9, s9, exec_lo
                                        ; implicit-def: $sgpr4
	s_delay_alu instid0(VALU_DEP_1)
	v_cmp_nle_f32_e64 s5, |v35|, v11
                                        ; implicit-def: $vgpr11
	s_wait_xcnt 0x0
	s_and_saveexec_b32 s19, s5
	s_cbranch_execz .LBB21_86
; %bb.88:                               ;   in Loop: Header=BB21_87 Depth=1
	global_load_b64 v[40:41], v[4:5], off
	s_xor_b32 s5, s18, -1
                                        ; implicit-def: $vgpr11
	s_wait_xcnt 0x0
	s_and_saveexec_b32 s4, s5
	s_delay_alu instid0(SALU_CYCLE_1)
	s_xor_b32 s4, exec_lo, s4
	s_cbranch_execz .LBB21_90
; %bb.89:                               ;   in Loop: Header=BB21_87 Depth=1
	v_dual_fma_f32 v11, v38, v38, v10 :: v_dual_fma_f32 v17, v38, v38, v36
	s_delay_alu instid0(VALU_DEP_1) | instskip(SKIP_1) | instid1(VALU_DEP_1)
	v_dual_cndmask_b32 v10, v10, v11, s0 :: v_dual_cndmask_b32 v36, v17, v36, s0
	s_wait_loadcnt 0x0
	v_fma_f32 v11, -v10, v40, v35
	s_delay_alu instid0(VALU_DEP_1)
	v_fma_f32 v11, -v36, v41, v11
.LBB21_90:                              ;   in Loop: Header=BB21_87 Depth=1
	s_and_not1_saveexec_b32 s4, s4
	s_cbranch_execz .LBB21_96
; %bb.91:                               ;   in Loop: Header=BB21_87 Depth=1
                                        ; implicit-def: $vgpr11
	s_and_saveexec_b32 s20, s1
	s_delay_alu instid0(SALU_CYCLE_1)
	s_xor_b32 s20, exec_lo, s20
	s_cbranch_execz .LBB21_93
; %bb.92:                               ;   in Loop: Header=BB21_87 Depth=1
	global_load_b32 v11, v[14:15], off offset:4
	s_wait_loadcnt 0x0
	v_mul_f32_e32 v17, v16, v11
	s_delay_alu instid0(VALU_DEP_1) | instskip(NEXT) | instid1(VALU_DEP_1)
	v_mul_f32_e32 v11, v11, v17
	v_div_scale_f32 v17, null, v41, v41, v11
	v_div_scale_f32 v38, vcc_lo, v11, v41, v11
	s_delay_alu instid0(VALU_DEP_2) | instskip(SKIP_1) | instid1(TRANS32_DEP_1)
	v_rcp_f32_e32 v20, v17
	v_nop
	v_fma_f32 v37, -v17, v20, 1.0
	s_delay_alu instid0(VALU_DEP_1) | instskip(NEXT) | instid1(VALU_DEP_1)
	v_fmac_f32_e32 v20, v37, v20
	v_mul_f32_e32 v37, v38, v20
	s_delay_alu instid0(VALU_DEP_1) | instskip(NEXT) | instid1(VALU_DEP_1)
	v_fma_f32 v39, -v17, v37, v38
	v_fmac_f32_e32 v37, v39, v20
	s_delay_alu instid0(VALU_DEP_1) | instskip(NEXT) | instid1(VALU_DEP_1)
	v_fma_f32 v17, -v17, v37, v38
	v_div_fmas_f32 v17, v17, v20, v37
	s_delay_alu instid0(VALU_DEP_1) | instskip(NEXT) | instid1(VALU_DEP_1)
	v_div_fixup_f32 v11, v17, v41, v11
	v_div_scale_f32 v17, null, v41, v41, v11
	s_delay_alu instid0(VALU_DEP_1) | instskip(SKIP_1) | instid1(TRANS32_DEP_1)
	v_rcp_f32_e32 v20, v17
	v_nop
	v_fma_f32 v37, -v17, v20, 1.0
	s_delay_alu instid0(VALU_DEP_1) | instskip(SKIP_1) | instid1(VALU_DEP_1)
	v_fmac_f32_e32 v20, v37, v20
	v_div_scale_f32 v37, vcc_lo, v11, v41, v11
	v_mul_f32_e32 v38, v37, v20
	s_delay_alu instid0(VALU_DEP_1) | instskip(NEXT) | instid1(VALU_DEP_1)
	v_fma_f32 v39, -v17, v38, v37
	v_fmac_f32_e32 v38, v39, v20
	s_delay_alu instid0(VALU_DEP_1) | instskip(NEXT) | instid1(VALU_DEP_1)
	v_fma_f32 v17, -v17, v38, v37
	v_div_fmas_f32 v17, v17, v20, v38
	v_fma_f32 v20, -v34, v40, v35
	s_delay_alu instid0(VALU_DEP_2) | instskip(NEXT) | instid1(VALU_DEP_1)
	v_div_fixup_f32 v11, v17, v41, v11
	v_sub_f32_e32 v11, v20, v11
.LBB21_93:                              ;   in Loop: Header=BB21_87 Depth=1
	s_wait_xcnt 0x0
	s_and_not1_saveexec_b32 s20, s20
	s_cbranch_execz .LBB21_95
; %bb.94:                               ;   in Loop: Header=BB21_87 Depth=1
	global_load_b32 v11, v[14:15], off
	s_wait_loadcnt 0x0
	v_mul_f32_e32 v17, v13, v11
	s_delay_alu instid0(VALU_DEP_1) | instskip(NEXT) | instid1(VALU_DEP_1)
	v_mul_f32_e32 v11, v11, v17
	v_div_scale_f32 v17, null, v40, v40, v11
	s_delay_alu instid0(VALU_DEP_1) | instskip(SKIP_1) | instid1(TRANS32_DEP_1)
	v_rcp_f32_e32 v20, v17
	v_nop
	v_fma_f32 v37, -v17, v20, 1.0
	s_delay_alu instid0(VALU_DEP_1) | instskip(SKIP_1) | instid1(VALU_DEP_1)
	v_fmac_f32_e32 v20, v37, v20
	v_div_scale_f32 v38, vcc_lo, v11, v40, v11
	v_mul_f32_e32 v37, v38, v20
	s_delay_alu instid0(VALU_DEP_1) | instskip(NEXT) | instid1(VALU_DEP_1)
	v_fma_f32 v39, -v17, v37, v38
	v_fmac_f32_e32 v37, v39, v20
	s_delay_alu instid0(VALU_DEP_1) | instskip(NEXT) | instid1(VALU_DEP_1)
	v_fma_f32 v17, -v17, v37, v38
	v_div_fmas_f32 v17, v17, v20, v37
	s_delay_alu instid0(VALU_DEP_1) | instskip(NEXT) | instid1(VALU_DEP_1)
	v_div_fixup_f32 v11, v17, v40, v11
	v_div_scale_f32 v17, null, v40, v40, v11
	s_delay_alu instid0(VALU_DEP_1) | instskip(SKIP_1) | instid1(TRANS32_DEP_1)
	v_rcp_f32_e32 v20, v17
	v_nop
	v_fma_f32 v37, -v17, v20, 1.0
	s_delay_alu instid0(VALU_DEP_1) | instskip(SKIP_1) | instid1(VALU_DEP_1)
	v_fmac_f32_e32 v20, v37, v20
	v_div_scale_f32 v37, vcc_lo, v11, v40, v11
	v_mul_f32_e32 v38, v37, v20
	s_delay_alu instid0(VALU_DEP_1) | instskip(NEXT) | instid1(VALU_DEP_1)
	v_fma_f32 v39, -v17, v38, v37
	v_fmac_f32_e32 v38, v39, v20
	s_delay_alu instid0(VALU_DEP_1) | instskip(NEXT) | instid1(VALU_DEP_1)
	v_fma_f32 v17, -v17, v38, v37
	v_div_fmas_f32 v17, v17, v20, v38
	v_fma_f32 v20, -v34, v41, v35
	s_delay_alu instid0(VALU_DEP_2) | instskip(NEXT) | instid1(VALU_DEP_1)
	v_div_fixup_f32 v11, v17, v40, v11
	v_sub_f32_e32 v11, v20, v11
.LBB21_95:                              ;   in Loop: Header=BB21_87 Depth=1
	s_wait_xcnt 0x0
	s_or_b32 exec_lo, exec_lo, s20
.LBB21_96:                              ;   in Loop: Header=BB21_87 Depth=1
	s_delay_alu instid0(SALU_CYCLE_1) | instskip(SKIP_4) | instid1(VALU_DEP_1)
	s_or_b32 exec_lo, exec_lo, s4
	s_wait_loadcnt 0x0
	v_dual_add_f32 v43, v40, v41 :: v_dual_mov_b32 v46, v40
	v_dual_mov_b32 v47, v35 :: v_dual_mov_b32 v42, v41
                                        ; implicit-def: $vgpr17
	s_mov_b32 s4, exec_lo
	v_pk_mul_f32 v[38:39], v[46:47], v[42:43]
	s_delay_alu instid0(VALU_DEP_1) | instskip(NEXT) | instid1(VALU_DEP_1)
	v_pk_mul_f32 v[48:49], v[34:35], v[38:39]
	v_dual_mov_b32 v50, v35 :: v_dual_mov_b32 v51, v48
	s_delay_alu instid0(VALU_DEP_1)
	v_pk_mul_f32 v[38:39], v[38:39], v[50:51]
	v_pk_fma_f32 v[42:43], v[46:47], v[42:43], v[50:51] neg_lo:[0,0,1] neg_hi:[0,0,1]
	v_cmpx_neq_f32_e32 0, v11
	s_xor_b32 s20, exec_lo, s4
	s_cbranch_execz .LBB21_102
; %bb.97:                               ;   in Loop: Header=BB21_87 Depth=1
	s_delay_alu instid0(VALU_DEP_2) | instskip(NEXT) | instid1(VALU_DEP_1)
	v_dual_mul_f32 v10, v43, v43 :: v_dual_mul_f32 v17, -4.0, v38
	v_fmac_f32_e32 v10, v17, v11
	s_delay_alu instid0(VALU_DEP_1) | instskip(SKIP_1) | instid1(VALU_DEP_1)
	v_mul_f32_e64 v17, 0x4f800000, |v10|
	v_cmp_gt_f32_e64 vcc_lo, 0xf800000, |v10|
	v_cndmask_b32_e64 v10, |v10|, v17, vcc_lo
	s_delay_alu instid0(VALU_DEP_1) | instskip(SKIP_1) | instid1(TRANS32_DEP_1)
	v_sqrt_f32_e32 v17, v10
	v_nop
	v_dual_add_nc_u32 v20, -1, v17 :: v_dual_add_nc_u32 v36, 1, v17
	s_delay_alu instid0(VALU_DEP_1) | instskip(NEXT) | instid1(VALU_DEP_1)
	v_fma_f32 v37, -v20, v17, v10
	v_cmp_ge_f32_e64 s4, 0, v37
	s_delay_alu instid0(VALU_DEP_1) | instskip(NEXT) | instid1(VALU_DEP_1)
	v_dual_fma_f32 v39, -v36, v17, v10 :: v_dual_cndmask_b32 v17, v17, v20, s4
	v_cmp_lt_f32_e64 s4, 0, v39
	s_delay_alu instid0(VALU_DEP_1) | instskip(SKIP_1) | instid1(VALU_DEP_1)
	v_cndmask_b32_e64 v17, v17, v36, s4
	s_mov_b32 s4, exec_lo
	v_mul_f32_e32 v20, 0x37800000, v17
	s_delay_alu instid0(VALU_DEP_1) | instskip(SKIP_1) | instid1(VALU_DEP_2)
	v_cndmask_b32_e32 v17, v17, v20, vcc_lo
	v_cmp_class_f32_e64 vcc_lo, v10, 0x260
	v_cndmask_b32_e32 v10, v17, v10, vcc_lo
                                        ; implicit-def: $vgpr17
	v_cmpx_ge_f32_e32 0, v43
	s_xor_b32 s4, exec_lo, s4
	s_cbranch_execz .LBB21_99
; %bb.98:                               ;   in Loop: Header=BB21_87 Depth=1
	s_delay_alu instid0(VALU_DEP_2) | instskip(SKIP_1) | instid1(VALU_DEP_1)
	v_sub_f32_e32 v10, v43, v10
	v_add_f32_e32 v11, v11, v11
                                        ; implicit-def: $vgpr42_vgpr43
	v_div_scale_f32 v17, null, v11, v11, v10
	s_delay_alu instid0(VALU_DEP_1) | instskip(SKIP_1) | instid1(TRANS32_DEP_1)
	v_rcp_f32_e32 v20, v17
	v_nop
	v_fma_f32 v36, -v17, v20, 1.0
	s_delay_alu instid0(VALU_DEP_1) | instskip(SKIP_1) | instid1(VALU_DEP_1)
	v_fmac_f32_e32 v20, v36, v20
	v_div_scale_f32 v36, vcc_lo, v10, v11, v10
	v_mul_f32_e32 v37, v36, v20
	s_delay_alu instid0(VALU_DEP_1) | instskip(NEXT) | instid1(VALU_DEP_1)
	v_fma_f32 v38, -v17, v37, v36
	v_fmac_f32_e32 v37, v38, v20
                                        ; implicit-def: $vgpr38_vgpr39
	s_delay_alu instid0(VALU_DEP_1) | instskip(NEXT) | instid1(VALU_DEP_1)
	v_fma_f32 v17, -v17, v37, v36
	v_div_fmas_f32 v17, v17, v20, v37
	s_delay_alu instid0(VALU_DEP_1)
	v_div_fixup_f32 v17, v17, v11, v10
                                        ; implicit-def: $vgpr10
.LBB21_99:                              ;   in Loop: Header=BB21_87 Depth=1
	s_and_not1_saveexec_b32 s4, s4
	s_cbranch_execz .LBB21_101
; %bb.100:                              ;   in Loop: Header=BB21_87 Depth=1
	v_add_f32_e32 v11, v38, v38
	v_add_f32_e32 v10, v43, v10
	s_delay_alu instid0(VALU_DEP_1) | instskip(NEXT) | instid1(VALU_DEP_1)
	v_div_scale_f32 v17, null, v10, v10, v11
	v_rcp_f32_e32 v20, v17
	v_nop
	s_delay_alu instid0(TRANS32_DEP_1) | instskip(NEXT) | instid1(VALU_DEP_1)
	v_fma_f32 v36, -v17, v20, 1.0
	v_fmac_f32_e32 v20, v36, v20
	v_div_scale_f32 v36, vcc_lo, v11, v10, v11
	s_delay_alu instid0(VALU_DEP_1) | instskip(NEXT) | instid1(VALU_DEP_1)
	v_mul_f32_e32 v37, v36, v20
	v_fma_f32 v38, -v17, v37, v36
	s_delay_alu instid0(VALU_DEP_1) | instskip(NEXT) | instid1(VALU_DEP_1)
	v_fmac_f32_e32 v37, v38, v20
	v_fma_f32 v17, -v17, v37, v36
	s_delay_alu instid0(VALU_DEP_1) | instskip(NEXT) | instid1(VALU_DEP_1)
	v_div_fmas_f32 v17, v17, v20, v37
	v_div_fixup_f32 v17, v17, v10, v11
.LBB21_101:                             ;   in Loop: Header=BB21_87 Depth=1
	s_or_b32 exec_lo, exec_lo, s4
                                        ; implicit-def: $vgpr43
                                        ; implicit-def: $vgpr38_vgpr39
                                        ; implicit-def: $vgpr40_vgpr41
                                        ; implicit-def: $vgpr36
                                        ; implicit-def: $vgpr10
.LBB21_102:                             ;   in Loop: Header=BB21_87 Depth=1
	s_and_not1_saveexec_b32 s4, s20
	s_cbranch_execz .LBB21_114
; %bb.103:                              ;   in Loop: Header=BB21_87 Depth=1
	s_mov_b32 s20, exec_lo
	v_cmpx_eq_f32_e32 0, v43
	s_cbranch_execz .LBB21_113
; %bb.104:                              ;   in Loop: Header=BB21_87 Depth=1
                                        ; implicit-def: $vgpr43
	s_and_saveexec_b32 s21, s5
	s_delay_alu instid0(SALU_CYCLE_1)
	s_xor_b32 s5, exec_lo, s21
; %bb.105:                              ;   in Loop: Header=BB21_87 Depth=1
	v_dual_mul_f32 v11, v41, v41 :: v_dual_mul_f32 v17, v40, v40
                                        ; implicit-def: $vgpr40_vgpr41
	s_delay_alu instid0(VALU_DEP_1) | instskip(NEXT) | instid1(VALU_DEP_1)
	v_mul_f32_e32 v43, v11, v36
                                        ; implicit-def: $vgpr36
	v_fmac_f32_e32 v43, v17, v10
                                        ; implicit-def: $vgpr10
; %bb.106:                              ;   in Loop: Header=BB21_87 Depth=1
	s_and_not1_saveexec_b32 s5, s5
	s_cbranch_execz .LBB21_112
; %bb.107:                              ;   in Loop: Header=BB21_87 Depth=1
	v_add_f32_e32 v10, v10, v36
                                        ; implicit-def: $vgpr43
	s_and_saveexec_b32 s21, s1
	s_delay_alu instid0(SALU_CYCLE_1)
	s_xor_b32 s21, exec_lo, s21
	s_cbranch_execz .LBB21_109
; %bb.108:                              ;   in Loop: Header=BB21_87 Depth=1
	global_load_b32 v37, v[14:15], off offset:4
	v_mul_f32_e32 v36, v40, v40
                                        ; implicit-def: $vgpr40_vgpr41
	s_wait_loadcnt 0x0
	v_mov_b32_e32 v11, v37
	s_delay_alu instid0(VALU_DEP_1) | instskip(NEXT) | instid1(VALU_DEP_1)
	v_pk_mul_f32 v[10:11], v[36:37], v[10:11]
	v_add_f32_e32 v43, v10, v11
                                        ; implicit-def: $vgpr10
.LBB21_109:                             ;   in Loop: Header=BB21_87 Depth=1
	s_wait_xcnt 0x0
	s_and_not1_saveexec_b32 s21, s21
	s_cbranch_execz .LBB21_111
; %bb.110:                              ;   in Loop: Header=BB21_87 Depth=1
	global_load_b32 v37, v[14:15], off
	v_mul_f32_e32 v36, v41, v41
	s_wait_loadcnt 0x0
	v_mov_b32_e32 v11, v37
	s_delay_alu instid0(VALU_DEP_1) | instskip(NEXT) | instid1(VALU_DEP_1)
	v_pk_mul_f32 v[10:11], v[36:37], v[10:11]
	v_add_f32_e32 v43, v10, v11
.LBB21_111:                             ;   in Loop: Header=BB21_87 Depth=1
	s_wait_xcnt 0x0
	s_or_b32 exec_lo, exec_lo, s21
.LBB21_112:                             ;   in Loop: Header=BB21_87 Depth=1
	s_delay_alu instid0(SALU_CYCLE_1)
	s_or_b32 exec_lo, exec_lo, s5
.LBB21_113:                             ;   in Loop: Header=BB21_87 Depth=1
	s_delay_alu instid0(SALU_CYCLE_1) | instskip(SKIP_1) | instid1(VALU_DEP_1)
	s_or_b32 exec_lo, exec_lo, s20
	v_div_scale_f32 v10, null, v43, v43, v38
	v_rcp_f32_e32 v11, v10
	v_nop
	s_delay_alu instid0(TRANS32_DEP_1) | instskip(NEXT) | instid1(VALU_DEP_1)
	v_fma_f32 v17, -v10, v11, 1.0
	v_fmac_f32_e32 v11, v17, v11
	v_div_scale_f32 v17, vcc_lo, v38, v43, v38
	s_delay_alu instid0(VALU_DEP_1) | instskip(NEXT) | instid1(VALU_DEP_1)
	v_mul_f32_e32 v20, v17, v11
	v_fma_f32 v36, -v10, v20, v17
	s_delay_alu instid0(VALU_DEP_1) | instskip(NEXT) | instid1(VALU_DEP_1)
	v_fmac_f32_e32 v20, v36, v11
	v_fma_f32 v10, -v10, v20, v17
	s_delay_alu instid0(VALU_DEP_1) | instskip(NEXT) | instid1(VALU_DEP_1)
	v_div_fmas_f32 v10, v10, v11, v20
	v_div_fixup_f32 v17, v10, v43, v38
.LBB21_114:                             ;   in Loop: Header=BB21_87 Depth=1
	s_or_b32 exec_lo, exec_lo, s4
	s_delay_alu instid0(VALU_DEP_1) | instskip(SKIP_1) | instid1(VALU_DEP_1)
	v_mul_f32_e32 v10, v35, v17
	s_mov_b32 s4, exec_lo
	v_cmpx_le_f32_e32 0, v10
	s_cbranch_execz .LBB21_116
; %bb.115:                              ;   in Loop: Header=BB21_87 Depth=1
	v_div_scale_f32 v10, null, v34, v34, -v35
	s_delay_alu instid0(VALU_DEP_1) | instskip(SKIP_1) | instid1(TRANS32_DEP_1)
	v_rcp_f32_e32 v11, v10
	v_nop
	v_fma_f32 v17, -v10, v11, 1.0
	s_delay_alu instid0(VALU_DEP_1) | instskip(SKIP_1) | instid1(VALU_DEP_1)
	v_fmac_f32_e32 v11, v17, v11
	v_div_scale_f32 v17, vcc_lo, -v35, v34, -v35
	v_mul_f32_e32 v20, v17, v11
	s_delay_alu instid0(VALU_DEP_1) | instskip(NEXT) | instid1(VALU_DEP_1)
	v_fma_f32 v36, -v10, v20, v17
	v_fmac_f32_e32 v20, v36, v11
	s_delay_alu instid0(VALU_DEP_1) | instskip(NEXT) | instid1(VALU_DEP_1)
	v_fma_f32 v10, -v10, v20, v17
	v_div_fmas_f32 v10, v10, v11, v20
	s_delay_alu instid0(VALU_DEP_1)
	v_div_fixup_f32 v17, v10, v34, -v35
.LBB21_116:                             ;   in Loop: Header=BB21_87 Depth=1
	s_or_b32 exec_lo, exec_lo, s4
	v_cmp_lt_f32_e32 vcc_lo, 0, v35
	v_cmp_lt_f32_e64 s4, v9, v19
	v_cmp_lt_f32_e64 s5, v23, v9
	v_add_f32_e32 v11, v9, v17
	s_and_b32 vcc_lo, vcc_lo, s4
	v_cndmask_b32_e64 v10, v23, v9, s5
	v_cndmask_b32_e32 v19, v19, v9, vcc_lo
	v_cmp_nge_f32_e32 vcc_lo, 0, v35
	s_delay_alu instid0(VALU_DEP_3) | instskip(NEXT) | instid1(VALU_DEP_3)
	v_cndmask_b32_e32 v23, v10, v23, vcc_lo
	v_cmp_gt_f32_e32 vcc_lo, v11, v19
	s_delay_alu instid0(VALU_DEP_2) | instskip(SKIP_1) | instid1(SALU_CYCLE_1)
	v_cmp_lt_f32_e64 s4, v11, v23
	s_or_b32 s5, vcc_lo, s4
	s_and_saveexec_b32 s4, s5
	s_cbranch_execz .LBB21_122
; %bb.117:                              ;   in Loop: Header=BB21_87 Depth=1
	s_mov_b32 s5, exec_lo
                                        ; implicit-def: $vgpr17
	v_cmpx_ngt_f32_e32 0, v35
	s_xor_b32 s5, exec_lo, s5
; %bb.118:                              ;   in Loop: Header=BB21_87 Depth=1
	v_sub_f32_e32 v10, v23, v9
	s_delay_alu instid0(VALU_DEP_1)
	v_mul_f32_e32 v17, 0.5, v10
; %bb.119:                              ;   in Loop: Header=BB21_87 Depth=1
	s_and_not1_saveexec_b32 s5, s5
; %bb.120:                              ;   in Loop: Header=BB21_87 Depth=1
	v_sub_f32_e32 v10, v19, v9
	s_delay_alu instid0(VALU_DEP_1)
	v_mul_f32_e32 v17, 0.5, v10
; %bb.121:                              ;   in Loop: Header=BB21_87 Depth=1
	s_or_b32 exec_lo, exec_lo, s5
.LBB21_122:                             ;   in Loop: Header=BB21_87 Depth=1
	s_delay_alu instid0(SALU_CYCLE_1) | instskip(NEXT) | instid1(VALU_DEP_1)
	s_or_b32 exec_lo, exec_lo, s4
	v_dual_mov_b32 v11, 0 :: v_dual_sub_f32 v20, v31, v17
	s_delay_alu instid0(VALU_DEP_1)
	v_dual_mov_b32 v10, v11 :: v_dual_mov_b32 v34, v11
	global_store_b32 v[26:27], v20, off
	s_wait_xcnt 0x0
	s_and_saveexec_b32 s4, s3
	s_cbranch_execz .LBB21_126
; %bb.123:                              ;   in Loop: Header=BB21_87 Depth=1
	v_dual_mov_b32 v20, 0 :: v_dual_mov_b32 v31, v12
	v_mov_b64_e32 v[36:37], v[6:7]
	v_mov_b64_e32 v[38:39], v[2:3]
	s_delay_alu instid0(VALU_DEP_3)
	v_dual_mov_b32 v10, 0 :: v_dual_mov_b32 v11, v20
	s_mov_b32 s5, 0
.LBB21_124:                             ;   Parent Loop BB21_87 Depth=1
                                        ; =>  This Inner Loop Header: Depth=2
	global_load_b32 v34, v[38:39], off
	s_wait_loadcnt 0x0
	v_dual_sub_f32 v34, v34, v17 :: v_dual_add_nc_u32 v31, -1, v31
	global_store_b32 v[38:39], v34, off
	global_load_b32 v41, v[36:37], off
	s_wait_xcnt 0x1
	v_add_nc_u64_e32 v[38:39], 4, v[38:39]
	s_wait_xcnt 0x0
	v_add_nc_u64_e32 v[36:37], 4, v[36:37]
	s_wait_loadcnt 0x0
	v_div_scale_f32 v40, null, v34, v34, v41
	s_delay_alu instid0(VALU_DEP_1) | instskip(SKIP_1) | instid1(TRANS32_DEP_1)
	v_rcp_f32_e32 v42, v40
	v_nop
	v_fma_f32 v43, -v40, v42, 1.0
	s_delay_alu instid0(VALU_DEP_1) | instskip(SKIP_1) | instid1(VALU_DEP_1)
	v_fmac_f32_e32 v42, v43, v42
	v_div_scale_f32 v45, vcc_lo, v41, v34, v41
	v_mul_f32_e32 v43, v45, v42
	s_delay_alu instid0(VALU_DEP_1) | instskip(NEXT) | instid1(VALU_DEP_1)
	v_fma_f32 v46, -v40, v43, v45
	v_fmac_f32_e32 v43, v46, v42
	s_delay_alu instid0(VALU_DEP_1) | instskip(NEXT) | instid1(VALU_DEP_1)
	v_fma_f32 v40, -v40, v43, v45
	v_div_fmas_f32 v40, v40, v42, v43
	v_cmp_eq_u32_e32 vcc_lo, 0, v31
	s_delay_alu instid0(VALU_DEP_2) | instskip(SKIP_1) | instid1(VALU_DEP_1)
	v_div_fixup_f32 v40, v40, v34, v41
	s_or_b32 s5, vcc_lo, s5
	v_pk_fma_f32 v[10:11], v[40:41], v[40:41], v[10:11] op_sel_hi:[1,0,1]
	s_delay_alu instid0(VALU_DEP_1)
	v_add_f32_e32 v20, v20, v11
	s_and_not1_b32 exec_lo, exec_lo, s5
	s_cbranch_execnz .LBB21_124
; %bb.125:                              ;   in Loop: Header=BB21_87 Depth=1
	s_or_b32 exec_lo, exec_lo, s5
	s_delay_alu instid0(VALU_DEP_1)
	v_and_b32_e32 v34, 0x7fffffff, v20
.LBB21_126:                             ;   in Loop: Header=BB21_87 Depth=1
	s_or_b32 exec_lo, exec_lo, s4
	v_mov_b32_e32 v37, 0
	s_delay_alu instid0(VALU_DEP_1)
	v_mov_b32_e32 v36, v37
	s_and_saveexec_b32 s4, s2
	s_cbranch_execz .LBB21_85
; %bb.127:                              ;   in Loop: Header=BB21_87 Depth=1
	v_dual_mov_b32 v36, 0 :: v_dual_mov_b32 v20, v8
	v_mov_b64_e32 v[38:39], v[32:33]
	v_mov_b64_e32 v[40:41], v[24:25]
	s_mov_b32 s5, 0
	s_delay_alu instid0(VALU_DEP_3)
	v_mov_b32_e32 v37, v36
.LBB21_128:                             ;   Parent Loop BB21_87 Depth=1
                                        ; =>  This Inner Loop Header: Depth=2
	global_load_b32 v31, v[40:41], off
	s_wait_loadcnt 0x0
	v_dual_sub_f32 v31, v31, v17 :: v_dual_add_nc_u32 v20, -1, v20
	global_store_b32 v[40:41], v31, off
	global_load_b32 v43, v[38:39], off
	s_wait_xcnt 0x1
	v_add_nc_u64_e32 v[40:41], -4, v[40:41]
	s_wait_xcnt 0x0
	v_add_nc_u64_e32 v[38:39], -4, v[38:39]
	s_wait_loadcnt 0x0
	v_div_scale_f32 v42, null, v31, v31, v43
	v_div_scale_f32 v47, vcc_lo, v43, v31, v43
	s_delay_alu instid0(VALU_DEP_2) | instskip(SKIP_1) | instid1(TRANS32_DEP_1)
	v_rcp_f32_e32 v45, v42
	v_nop
	v_fma_f32 v46, -v42, v45, 1.0
	s_delay_alu instid0(VALU_DEP_1) | instskip(NEXT) | instid1(VALU_DEP_1)
	v_fmac_f32_e32 v45, v46, v45
	v_mul_f32_e32 v46, v47, v45
	s_delay_alu instid0(VALU_DEP_1) | instskip(NEXT) | instid1(VALU_DEP_1)
	v_fma_f32 v48, -v42, v46, v47
	v_fmac_f32_e32 v46, v48, v45
	s_delay_alu instid0(VALU_DEP_1) | instskip(NEXT) | instid1(VALU_DEP_1)
	v_fma_f32 v42, -v42, v46, v47
	v_div_fmas_f32 v42, v42, v45, v46
	v_cmp_le_i32_e32 vcc_lo, v20, v12
	s_delay_alu instid0(VALU_DEP_2) | instskip(SKIP_1) | instid1(VALU_DEP_1)
	v_div_fixup_f32 v42, v42, v31, v43
	s_or_b32 s5, vcc_lo, s5
	v_pk_fma_f32 v[36:37], v[42:43], v[42:43], v[36:37] op_sel_hi:[1,0,1]
	s_delay_alu instid0(VALU_DEP_1)
	v_add_f32_e32 v34, v34, v37
	s_and_not1_b32 exec_lo, exec_lo, s5
	s_cbranch_execnz .LBB21_128
; %bb.129:                              ;   in Loop: Header=BB21_87 Depth=1
	s_or_b32 exec_lo, exec_lo, s5
	s_branch .LBB21_85
.LBB21_130:
	s_or_b32 exec_lo, exec_lo, s6
	v_add_f32_e32 v38, v22, v9
.LBB21_131:
	s_or_b32 exec_lo, exec_lo, s7
                                        ; implicit-def: $vgpr20
                                        ; implicit-def: $vgpr28
                                        ; implicit-def: $vgpr26
                                        ; implicit-def: $vgpr2_vgpr3
                                        ; implicit-def: $vgpr6_vgpr7
                                        ; implicit-def: $vgpr4_vgpr5
                                        ; implicit-def: $vgpr10
                                        ; implicit-def: $vgpr24_vgpr25
.LBB21_132:
	s_and_not1_saveexec_b32 s3, s25
	s_cbranch_execz .LBB21_207
; %bb.133:
	v_dual_ashrrev_i32 v29, 31, v28 :: v_dual_mov_b32 v19, 0
	s_wait_loadcnt 0x0
	v_fma_f32 v16, |v44|, 0.5, v10
	s_mov_b32 s0, exec_lo
	s_delay_alu instid0(VALU_DEP_2)
	v_lshl_add_u64 v[8:9], v[28:29], 2, v[2:3]
	global_load_b32 v18, v[8:9], off offset:-8
	s_wait_xcnt 0x0
	v_cmpx_lt_i32_e32 2, v28
	s_cbranch_execz .LBB21_137
; %bb.134:
	v_mov_b64_e32 v[12:13], v[6:7]
	v_mov_b64_e32 v[14:15], v[2:3]
	v_dual_add_nc_u32 v11, -2, v28 :: v_dual_mov_b32 v19, 0
	s_mov_b32 s1, 0
.LBB21_135:                             ; =>This Inner Loop Header: Depth=1
	global_load_b32 v17, v[14:15], off
	global_load_b32 v21, v[12:13], off
	v_add_nc_u32_e32 v11, -1, v11
	s_wait_xcnt 0x1
	v_add_nc_u64_e32 v[14:15], 4, v[14:15]
	s_wait_xcnt 0x0
	v_add_nc_u64_e32 v[12:13], 4, v[12:13]
	s_wait_loadcnt 0x1
	v_sub_f32_e32 v17, v17, v16
	s_wait_loadcnt 0x0
	s_delay_alu instid0(VALU_DEP_1) | instskip(NEXT) | instid1(VALU_DEP_1)
	v_div_scale_f32 v22, null, v17, v17, v21
	v_rcp_f32_e32 v23, v22
	v_nop
	s_delay_alu instid0(TRANS32_DEP_1) | instskip(NEXT) | instid1(VALU_DEP_1)
	v_fma_f32 v30, -v22, v23, 1.0
	v_fmac_f32_e32 v23, v30, v23
	v_div_scale_f32 v31, vcc_lo, v21, v17, v21
	s_delay_alu instid0(VALU_DEP_1) | instskip(NEXT) | instid1(VALU_DEP_1)
	v_mul_f32_e32 v30, v31, v23
	v_fma_f32 v32, -v22, v30, v31
	s_delay_alu instid0(VALU_DEP_1) | instskip(NEXT) | instid1(VALU_DEP_1)
	v_fmac_f32_e32 v30, v32, v23
	v_fma_f32 v22, -v22, v30, v31
	s_delay_alu instid0(VALU_DEP_1) | instskip(SKIP_1) | instid1(VALU_DEP_2)
	v_div_fmas_f32 v22, v22, v23, v30
	v_cmp_eq_u32_e32 vcc_lo, 0, v11
	v_div_fixup_f32 v17, v22, v17, v21
	s_or_b32 s1, vcc_lo, s1
	s_delay_alu instid0(VALU_DEP_1)
	v_fmac_f32_e32 v19, v21, v17
	s_and_not1_b32 exec_lo, exec_lo, s1
	s_cbranch_execnz .LBB21_135
; %bb.136:
	s_or_b32 exec_lo, exec_lo, s1
.LBB21_137:
	s_delay_alu instid0(SALU_CYCLE_1)
	s_or_b32 exec_lo, exec_lo, s0
	v_lshl_add_u64 v[14:15], v[28:29], 2, v[6:7]
	v_lshl_add_u64 v[12:13], v[26:27], 2, v[6:7]
	v_and_b32_e32 v29, 0x7fffffff, v44
	v_mul_f32_e64 v11, |v44|, 0.5
	s_clause 0x1
	global_load_b32 v22, v[14:15], off offset:-8
	global_load_b32 v23, v[12:13], off
	s_wait_xcnt 0x1
	v_div_scale_f32 v14, null, v29, v29, 1.0
	v_div_scale_f32 v30, vcc_lo, 1.0, v29, 1.0
	s_delay_alu instid0(VALU_DEP_2)
	v_rcp_f32_e32 v15, v14
	s_wait_loadcnt 0x2
	v_sub_f32_e32 v21, v18, v16
	v_sub_f32_e32 v18, v10, v18
	s_wait_loadcnt 0x0
	v_pk_mul_f32 v[16:17], v[22:23], v[22:23]
	s_delay_alu instid0(TRANS32_DEP_1) | instskip(NEXT) | instid1(VALU_DEP_1)
	v_fma_f32 v23, -v14, v15, 1.0
	v_fmac_f32_e32 v15, v23, v15
	s_delay_alu instid0(VALU_DEP_3) | instskip(SKIP_1) | instid1(VALU_DEP_3)
	v_div_scale_f32 v22, null, v21, v21, v16
	v_div_scale_f32 v32, s0, v16, v21, v16
	v_mul_f32_e32 v31, v30, v15
	s_delay_alu instid0(VALU_DEP_3) | instskip(SKIP_1) | instid1(TRANS32_DEP_1)
	v_rcp_f32_e32 v27, v22
	v_nop
	v_fma_f32 v23, -v22, v27, 1.0
	s_delay_alu instid0(VALU_DEP_1) | instskip(SKIP_1) | instid1(VALU_DEP_2)
	v_fmac_f32_e32 v27, v23, v27
	v_fma_f32 v23, -v14, v31, v30
	v_mul_f32_e32 v33, v32, v27
	s_delay_alu instid0(VALU_DEP_1) | instskip(NEXT) | instid1(VALU_DEP_1)
	v_dual_fmac_f32 v31, v23, v15 :: v_dual_fma_f32 v23, -v22, v33, v32
	v_fma_f32 v14, -v14, v31, v30
	s_delay_alu instid0(VALU_DEP_2) | instskip(NEXT) | instid1(VALU_DEP_2)
	v_fmac_f32_e32 v33, v23, v27
	v_div_fmas_f32 v14, v14, v15, v31
	s_mov_b32 vcc_lo, s0
	s_mov_b32 s0, exec_lo
	s_delay_alu instid0(VALU_DEP_2) | instskip(NEXT) | instid1(VALU_DEP_2)
	v_fma_f32 v15, -v22, v33, v32
	v_div_fixup_f32 v14, v14, |v44|, 1.0
	s_delay_alu instid0(VALU_DEP_2) | instskip(NEXT) | instid1(VALU_DEP_2)
	v_div_fmas_f32 v22, v15, v27, v33
	v_dual_add_f32 v15, v14, v19 :: v_dual_add_f32 v19, v17, v17
                                        ; implicit-def: $vgpr27
	s_delay_alu instid0(VALU_DEP_2) | instskip(NEXT) | instid1(VALU_DEP_1)
	v_div_fixup_f32 v21, v22, v21, v16
	v_dual_mul_f32 v19, v14, v19 :: v_dual_add_f32 v21, v15, v21
	s_wait_xcnt 0x0
	s_delay_alu instid0(VALU_DEP_1)
	v_cmpx_ngt_f32_e32 v21, v19
	s_xor_b32 s1, exec_lo, s0
	s_cbranch_execz .LBB21_145
; %bb.138:
	v_add_f32_e64 v19, |v44|, v18
	v_div_scale_f32 v21, null, v29, v29, v17
	v_div_scale_f32 v32, vcc_lo, v17, v29, v17
	s_delay_alu instid0(VALU_DEP_3) | instskip(NEXT) | instid1(VALU_DEP_3)
	v_div_scale_f32 v22, null, v19, v19, v16
	v_rcp_f32_e32 v23, v21
	s_mov_b32 s2, exec_lo
	s_delay_alu instid0(VALU_DEP_1) | instskip(NEXT) | instid1(TRANS32_DEP_2)
	v_rcp_f32_e32 v27, v22
	v_fma_f32 v30, -v21, v23, 1.0
	s_delay_alu instid0(TRANS32_DEP_1) | instskip(NEXT) | instid1(VALU_DEP_2)
	v_fma_f32 v31, -v22, v27, 1.0
	v_fmac_f32_e32 v23, v30, v23
	v_div_scale_f32 v30, s0, v16, v19, v16
	s_delay_alu instid0(VALU_DEP_3) | instskip(NEXT) | instid1(VALU_DEP_1)
	v_fmac_f32_e32 v27, v31, v27
	v_mul_f32_e32 v33, v30, v27
	s_delay_alu instid0(VALU_DEP_1) | instskip(NEXT) | instid1(VALU_DEP_1)
	v_fma_f32 v35, -v22, v33, v30
	v_fmac_f32_e32 v33, v35, v27
	s_delay_alu instid0(VALU_DEP_1) | instskip(NEXT) | instid1(VALU_DEP_1)
	v_dual_mul_f32 v31, v32, v23 :: v_dual_fma_f32 v22, -v22, v33, v30
	v_fma_f32 v34, -v21, v31, v32
	s_delay_alu instid0(VALU_DEP_1) | instskip(NEXT) | instid1(VALU_DEP_1)
	v_fmac_f32_e32 v31, v34, v23
	v_fma_f32 v21, -v21, v31, v32
	s_delay_alu instid0(VALU_DEP_1) | instskip(SKIP_3) | instid1(VALU_DEP_3)
	v_div_fmas_f32 v21, v21, v23, v31
	s_mov_b32 vcc_lo, s0
	v_div_fmas_f32 v22, v22, v27, v33
	v_mov_b32_e32 v27, v29
	v_div_fixup_f32 v21, v21, |v44|, v17
	s_delay_alu instid0(VALU_DEP_3) | instskip(NEXT) | instid1(VALU_DEP_1)
	v_div_fixup_f32 v19, v22, v19, v16
	v_add_f32_e32 v19, v19, v21
	s_delay_alu instid0(VALU_DEP_1)
	v_cmpx_nle_f32_e32 v15, v19
	s_cbranch_execz .LBB21_144
; %bb.139:
	v_dual_mul_f32 v19, v18, v17 :: v_dual_fma_f32 v16, -v18, v15, v16
	s_delay_alu instid0(VALU_DEP_1) | instskip(NEXT) | instid1(VALU_DEP_1)
	v_dual_mul_f32 v18, 4.0, v19 :: v_dual_add_f32 v16, v17, v16
	v_mul_f32_e32 v17, v15, v18
	s_delay_alu instid0(VALU_DEP_1) | instskip(NEXT) | instid1(VALU_DEP_1)
	v_fmac_f32_e32 v17, v16, v16
	v_mul_f32_e32 v18, 0x4f800000, v17
	v_cmp_gt_f32_e32 vcc_lo, 0xf800000, v17
	s_delay_alu instid0(VALU_DEP_2) | instskip(NEXT) | instid1(VALU_DEP_1)
	v_cndmask_b32_e32 v17, v17, v18, vcc_lo
	v_sqrt_f32_e32 v18, v17
	v_nop
	s_delay_alu instid0(TRANS32_DEP_1) | instskip(NEXT) | instid1(VALU_DEP_1)
	v_dual_add_nc_u32 v21, -1, v18 :: v_dual_add_nc_u32 v22, 1, v18
	v_dual_fma_f32 v23, -v21, v18, v17 :: v_dual_fma_f32 v27, -v22, v18, v17
	s_delay_alu instid0(VALU_DEP_1) | instskip(NEXT) | instid1(VALU_DEP_1)
	v_cmp_ge_f32_e64 s0, 0, v23
	v_cndmask_b32_e64 v18, v18, v21, s0
	s_delay_alu instid0(VALU_DEP_3) | instskip(NEXT) | instid1(VALU_DEP_1)
	v_cmp_lt_f32_e64 s0, 0, v27
                                        ; implicit-def: $vgpr27
	v_cndmask_b32_e64 v18, v18, v22, s0
	s_mov_b32 s0, exec_lo
	s_delay_alu instid0(VALU_DEP_1) | instskip(NEXT) | instid1(VALU_DEP_1)
	v_mul_f32_e32 v21, 0x37800000, v18
	v_cndmask_b32_e32 v18, v18, v21, vcc_lo
	v_cmp_class_f32_e64 vcc_lo, v17, 0x260
	s_delay_alu instid0(VALU_DEP_2)
	v_cndmask_b32_e32 v17, v18, v17, vcc_lo
	v_cmpx_ngt_f32_e32 0, v16
	s_xor_b32 s0, exec_lo, s0
	s_cbranch_execz .LBB21_141
; %bb.140:
	s_delay_alu instid0(VALU_DEP_2) | instskip(NEXT) | instid1(VALU_DEP_1)
	v_dual_add_f32 v16, v16, v17 :: v_dual_add_f32 v15, v15, v15
	v_div_scale_f32 v17, null, v15, v15, v16
	s_delay_alu instid0(VALU_DEP_1) | instskip(SKIP_1) | instid1(TRANS32_DEP_1)
	v_rcp_f32_e32 v18, v17
	v_nop
	v_fma_f32 v19, -v17, v18, 1.0
	s_delay_alu instid0(VALU_DEP_1) | instskip(SKIP_1) | instid1(VALU_DEP_1)
	v_fmac_f32_e32 v18, v19, v18
	v_div_scale_f32 v19, vcc_lo, v16, v15, v16
	v_mul_f32_e32 v21, v19, v18
	s_delay_alu instid0(VALU_DEP_1) | instskip(NEXT) | instid1(VALU_DEP_1)
	v_fma_f32 v22, -v17, v21, v19
	v_fmac_f32_e32 v21, v22, v18
	s_delay_alu instid0(VALU_DEP_1) | instskip(NEXT) | instid1(VALU_DEP_1)
	v_fma_f32 v17, -v17, v21, v19
                                        ; implicit-def: $vgpr19
	v_div_fmas_f32 v17, v17, v18, v21
	s_delay_alu instid0(VALU_DEP_1)
	v_div_fixup_f32 v27, v17, v15, v16
                                        ; implicit-def: $vgpr17
                                        ; implicit-def: $vgpr16
.LBB21_141:
	s_and_not1_saveexec_b32 s0, s0
	s_cbranch_execz .LBB21_143
; %bb.142:
	v_dual_add_f32 v15, v19, v19 :: v_dual_sub_f32 v16, v17, v16
	s_delay_alu instid0(VALU_DEP_1) | instskip(NEXT) | instid1(VALU_DEP_1)
	v_div_scale_f32 v17, null, v16, v16, v15
	v_rcp_f32_e32 v18, v17
	v_nop
	s_delay_alu instid0(TRANS32_DEP_1) | instskip(NEXT) | instid1(VALU_DEP_1)
	v_fma_f32 v19, -v17, v18, 1.0
	v_fmac_f32_e32 v18, v19, v18
	v_div_scale_f32 v19, vcc_lo, v15, v16, v15
	s_delay_alu instid0(VALU_DEP_1) | instskip(NEXT) | instid1(VALU_DEP_1)
	v_mul_f32_e32 v21, v19, v18
	v_fma_f32 v22, -v17, v21, v19
	s_delay_alu instid0(VALU_DEP_1) | instskip(NEXT) | instid1(VALU_DEP_1)
	v_fmac_f32_e32 v21, v22, v18
	v_fma_f32 v17, -v17, v21, v19
	s_delay_alu instid0(VALU_DEP_1) | instskip(NEXT) | instid1(VALU_DEP_1)
	v_div_fmas_f32 v17, v17, v18, v21
	v_div_fixup_f32 v27, v17, v16, v15
.LBB21_143:
	s_or_b32 exec_lo, exec_lo, s0
.LBB21_144:
	s_delay_alu instid0(SALU_CYCLE_1)
	s_or_b32 exec_lo, exec_lo, s2
                                        ; implicit-def: $vgpr18
                                        ; implicit-def: $vgpr15
                                        ; implicit-def: $vgpr16_vgpr17
.LBB21_145:
	s_or_saveexec_b32 s1, s1
	v_mov_b32_e32 v30, v11
	s_xor_b32 exec_lo, exec_lo, s1
	s_cbranch_execz .LBB21_151
; %bb.146:
	v_dual_mul_f32 v19, v18, v17 :: v_dual_fma_f32 v16, -v18, v15, v16
	s_delay_alu instid0(VALU_DEP_1) | instskip(NEXT) | instid1(VALU_DEP_1)
	v_dual_mul_f32 v18, 4.0, v19 :: v_dual_add_f32 v16, v17, v16
	v_mul_f32_e32 v17, v15, v18
	s_delay_alu instid0(VALU_DEP_1) | instskip(NEXT) | instid1(VALU_DEP_1)
	v_fmac_f32_e32 v17, v16, v16
	v_mul_f32_e32 v18, 0x4f800000, v17
	v_cmp_gt_f32_e32 vcc_lo, 0xf800000, v17
	s_delay_alu instid0(VALU_DEP_2) | instskip(NEXT) | instid1(VALU_DEP_1)
	v_cndmask_b32_e32 v17, v17, v18, vcc_lo
	v_sqrt_f32_e32 v18, v17
	v_nop
	s_delay_alu instid0(TRANS32_DEP_1) | instskip(NEXT) | instid1(VALU_DEP_1)
	v_dual_add_nc_u32 v21, -1, v18 :: v_dual_add_nc_u32 v22, 1, v18
	v_dual_fma_f32 v23, -v21, v18, v17 :: v_dual_fma_f32 v27, -v22, v18, v17
	s_delay_alu instid0(VALU_DEP_1) | instskip(NEXT) | instid1(VALU_DEP_1)
	v_cmp_ge_f32_e64 s0, 0, v23
	v_cndmask_b32_e64 v18, v18, v21, s0
	s_delay_alu instid0(VALU_DEP_3) | instskip(NEXT) | instid1(VALU_DEP_1)
	v_cmp_lt_f32_e64 s0, 0, v27
                                        ; implicit-def: $vgpr27
	v_cndmask_b32_e64 v18, v18, v22, s0
	s_mov_b32 s0, exec_lo
	s_delay_alu instid0(VALU_DEP_1) | instskip(NEXT) | instid1(VALU_DEP_1)
	v_mul_f32_e32 v21, 0x37800000, v18
	v_cndmask_b32_e32 v18, v18, v21, vcc_lo
	v_cmp_class_f32_e64 vcc_lo, v17, 0x260
	s_delay_alu instid0(VALU_DEP_2)
	v_cndmask_b32_e32 v17, v18, v17, vcc_lo
	v_cmpx_ngt_f32_e32 0, v16
	s_xor_b32 s0, exec_lo, s0
	s_cbranch_execz .LBB21_148
; %bb.147:
	s_delay_alu instid0(VALU_DEP_2) | instskip(NEXT) | instid1(VALU_DEP_1)
	v_dual_add_f32 v16, v16, v17 :: v_dual_add_f32 v15, v15, v15
	v_div_scale_f32 v17, null, v15, v15, v16
	s_delay_alu instid0(VALU_DEP_1) | instskip(SKIP_1) | instid1(TRANS32_DEP_1)
	v_rcp_f32_e32 v18, v17
	v_nop
	v_fma_f32 v19, -v17, v18, 1.0
	s_delay_alu instid0(VALU_DEP_1) | instskip(SKIP_1) | instid1(VALU_DEP_1)
	v_fmac_f32_e32 v18, v19, v18
	v_div_scale_f32 v19, vcc_lo, v16, v15, v16
	v_mul_f32_e32 v21, v19, v18
	s_delay_alu instid0(VALU_DEP_1) | instskip(NEXT) | instid1(VALU_DEP_1)
	v_fma_f32 v22, -v17, v21, v19
	v_fmac_f32_e32 v21, v22, v18
	s_delay_alu instid0(VALU_DEP_1) | instskip(NEXT) | instid1(VALU_DEP_1)
	v_fma_f32 v17, -v17, v21, v19
                                        ; implicit-def: $vgpr19
	v_div_fmas_f32 v17, v17, v18, v21
	s_delay_alu instid0(VALU_DEP_1)
	v_div_fixup_f32 v27, v17, v15, v16
                                        ; implicit-def: $vgpr17
                                        ; implicit-def: $vgpr16
.LBB21_148:
	s_and_not1_saveexec_b32 s0, s0
	s_cbranch_execz .LBB21_150
; %bb.149:
	v_dual_add_f32 v15, v19, v19 :: v_dual_sub_f32 v16, v17, v16
	s_delay_alu instid0(VALU_DEP_1) | instskip(NEXT) | instid1(VALU_DEP_1)
	v_div_scale_f32 v17, null, v16, v16, v15
	v_rcp_f32_e32 v18, v17
	v_nop
	s_delay_alu instid0(TRANS32_DEP_1) | instskip(NEXT) | instid1(VALU_DEP_1)
	v_fma_f32 v19, -v17, v18, 1.0
	v_fmac_f32_e32 v18, v19, v18
	v_div_scale_f32 v19, vcc_lo, v15, v16, v15
	s_delay_alu instid0(VALU_DEP_1) | instskip(NEXT) | instid1(VALU_DEP_1)
	v_mul_f32_e32 v21, v19, v18
	v_fma_f32 v22, -v17, v21, v19
	s_delay_alu instid0(VALU_DEP_1) | instskip(NEXT) | instid1(VALU_DEP_1)
	v_fmac_f32_e32 v21, v22, v18
	v_fma_f32 v17, -v17, v21, v19
	s_delay_alu instid0(VALU_DEP_1) | instskip(NEXT) | instid1(VALU_DEP_1)
	v_div_fmas_f32 v17, v17, v18, v21
	v_div_fixup_f32 v27, v17, v16, v15
.LBB21_150:
	s_or_b32 exec_lo, exec_lo, s0
	v_dual_mov_b32 v30, 0 :: v_dual_mov_b32 v29, v11
.LBB21_151:
	s_or_b32 exec_lo, exec_lo, s1
	v_cmp_lt_i32_e64 s0, 1, v28
	v_mov_b32_e32 v11, v10
	s_and_saveexec_b32 s1, s0
	s_cbranch_execz .LBB21_160
; %bb.152:
	v_mov_b32_e32 v16, 0
	s_mov_b32 s4, -1
	s_mov_b32 s2, exec_lo
	v_cmpx_lt_u32_e32 1, v26
	s_cbranch_execz .LBB21_156
; %bb.153:
	v_dual_mov_b32 v11, v10 :: v_dual_bitop2_b32 v16, -2, v26 bitop3:0x40
	v_mov_b64_e32 v[18:19], v[2:3]
	s_mov_b32 s4, 0
	s_delay_alu instid0(VALU_DEP_2)
	v_mov_b32_e32 v15, v16
.LBB21_154:                             ; =>This Inner Loop Header: Depth=1
	global_load_b64 v[22:23], v[18:19], off
	v_add_nc_u32_e32 v15, -2, v15
	s_delay_alu instid0(VALU_DEP_1)
	v_cmp_eq_u32_e32 vcc_lo, 0, v15
	s_or_b32 s4, vcc_lo, s4
	s_wait_loadcnt 0x0
	v_pk_add_f32 v[22:23], v[22:23], v[10:11] neg_lo:[0,1] neg_hi:[0,1]
	global_store_b64 v[18:19], v[22:23], off
	s_wait_xcnt 0x0
	v_add_nc_u64_e32 v[18:19], 8, v[18:19]
	s_and_not1_b32 exec_lo, exec_lo, s4
	s_cbranch_execnz .LBB21_154
; %bb.155:
	s_or_b32 exec_lo, exec_lo, s4
	v_cmp_ne_u32_e32 vcc_lo, v26, v16
	s_or_not1_b32 s4, vcc_lo, exec_lo
.LBB21_156:
	s_or_b32 exec_lo, exec_lo, s2
	s_and_saveexec_b32 s2, s4
	s_cbranch_execz .LBB21_159
; %bb.157:
	v_lshlrev_b64_e32 v[18:19], 2, v[24:25]
	v_dual_mov_b32 v17, 0 :: v_dual_sub_nc_u32 v11, v0, v16
	s_add_nc_u64 s[4:5], s[10:11], s[14:15]
	s_delay_alu instid0(VALU_DEP_1) | instskip(NEXT) | instid1(VALU_DEP_3)
	v_sub_nc_u32_e32 v11, v11, v20
	v_lshl_add_u64 v[18:19], s[16:17], 2, v[18:19]
	s_delay_alu instid0(VALU_DEP_1) | instskip(NEXT) | instid1(VALU_DEP_1)
	v_lshl_add_u64 v[18:19], v[16:17], 2, v[18:19]
	v_add_nc_u64_e32 v[16:17], s[4:5], v[18:19]
	s_mov_b32 s4, 0
.LBB21_158:                             ; =>This Inner Loop Header: Depth=1
	global_load_b32 v15, v[16:17], off
	s_wait_loadcnt 0x0
	v_dual_add_nc_u32 v11, -1, v11 :: v_dual_sub_f32 v15, v15, v10
	s_delay_alu instid0(VALU_DEP_1) | instskip(SKIP_4) | instid1(SALU_CYCLE_1)
	v_cmp_eq_u32_e32 vcc_lo, 0, v11
	global_store_b32 v[16:17], v15, off
	s_wait_xcnt 0x0
	v_add_nc_u64_e32 v[16:17], 4, v[16:17]
	s_or_b32 s4, vcc_lo, s4
	s_and_not1_b32 exec_lo, exec_lo, s4
	s_cbranch_execnz .LBB21_158
.LBB21_159:
	s_or_b32 exec_lo, exec_lo, s2
	global_load_b32 v11, v[4:5], off
.LBB21_160:
	s_wait_xcnt 0x0
	s_or_b32 exec_lo, exec_lo, s1
	s_wait_loadcnt 0x0
	v_dual_mov_b32 v23, 0 :: v_dual_sub_f32 v15, v11, v10
	s_delay_alu instid0(VALU_DEP_1)
	v_dual_mov_b32 v22, v23 :: v_dual_mov_b32 v16, v23
	global_store_b32 v[4:5], v15, off
	s_wait_xcnt 0x0
	s_and_saveexec_b32 s1, s0
	s_cbranch_execz .LBB21_164
; %bb.161:
	v_dual_mov_b32 v11, 0 :: v_dual_mov_b32 v15, v26
	v_mov_b64_e32 v[16:17], v[6:7]
	v_mov_b64_e32 v[18:19], v[2:3]
	s_delay_alu instid0(VALU_DEP_3)
	v_dual_mov_b32 v22, 0 :: v_dual_mov_b32 v23, v11
	s_mov_b32 s2, 0
.LBB21_162:                             ; =>This Inner Loop Header: Depth=1
	global_load_b32 v20, v[18:19], off
	v_add_nc_u32_e32 v15, -1, v15
	s_wait_loadcnt 0x0
	v_sub_f32_e32 v21, v20, v27
	global_store_b32 v[18:19], v21, off
	global_load_b32 v20, v[16:17], off
	s_wait_xcnt 0x1
	v_add_nc_u64_e32 v[18:19], 4, v[18:19]
	s_wait_xcnt 0x0
	v_add_nc_u64_e32 v[16:17], 4, v[16:17]
	s_wait_loadcnt 0x0
	v_div_scale_f32 v24, null, v21, v21, v20
	v_div_scale_f32 v31, vcc_lo, v20, v21, v20
	s_delay_alu instid0(VALU_DEP_2) | instskip(SKIP_1) | instid1(TRANS32_DEP_1)
	v_rcp_f32_e32 v25, v24
	v_nop
	v_fma_f32 v28, -v24, v25, 1.0
	s_delay_alu instid0(VALU_DEP_1) | instskip(NEXT) | instid1(VALU_DEP_1)
	v_fmac_f32_e32 v25, v28, v25
	v_mul_f32_e32 v28, v31, v25
	s_delay_alu instid0(VALU_DEP_1) | instskip(NEXT) | instid1(VALU_DEP_1)
	v_fma_f32 v32, -v24, v28, v31
	v_fmac_f32_e32 v28, v32, v25
	s_delay_alu instid0(VALU_DEP_1) | instskip(NEXT) | instid1(VALU_DEP_1)
	v_fma_f32 v24, -v24, v28, v31
	v_div_fmas_f32 v24, v24, v25, v28
	v_cmp_eq_u32_e32 vcc_lo, 0, v15
	s_delay_alu instid0(VALU_DEP_2) | instskip(SKIP_1) | instid1(VALU_DEP_1)
	v_div_fixup_f32 v21, v24, v21, v20
	s_or_b32 s2, vcc_lo, s2
	v_mov_b32_e32 v24, v21
	s_delay_alu instid0(VALU_DEP_1) | instskip(NEXT) | instid1(VALU_DEP_1)
	v_pk_fma_f32 v[22:23], v[20:21], v[24:25], v[22:23] op_sel_hi:[1,0,1]
	v_add_f32_e32 v11, v11, v22
	s_and_not1_b32 exec_lo, exec_lo, s2
	s_cbranch_execnz .LBB21_162
; %bb.163:
	s_or_b32 exec_lo, exec_lo, s2
	global_load_b32 v15, v[4:5], off
	v_and_b32_e32 v16, 0x7fffffff, v11
.LBB21_164:
	s_wait_xcnt 0x0
	s_or_b32 exec_lo, exec_lo, s1
	s_wait_loadcnt 0x0
	v_sub_f32_e32 v18, v15, v27
	v_and_b32_e32 v35, 0x7fffffff, v27
	v_mov_b32_e32 v34, 0x41000000
	s_mov_b32 s4, exec_lo
	global_store_b32 v[4:5], v18, off
	global_load_b32 v11, v[12:13], off
	s_wait_loadcnt 0x0
	v_div_scale_f32 v15, null, v18, v18, v11
	v_div_scale_f32 v20, vcc_lo, v11, v18, v11
	s_delay_alu instid0(VALU_DEP_2) | instskip(SKIP_1) | instid1(TRANS32_DEP_1)
	v_rcp_f32_e32 v17, v15
	v_nop
	v_fma_f32 v19, -v15, v17, 1.0
	s_delay_alu instid0(VALU_DEP_1) | instskip(NEXT) | instid1(VALU_DEP_1)
	v_fmac_f32_e32 v17, v19, v17
	v_mul_f32_e32 v19, v20, v17
	s_delay_alu instid0(VALU_DEP_1) | instskip(NEXT) | instid1(VALU_DEP_1)
	v_fma_f32 v21, -v15, v19, v20
	v_dual_fmac_f32 v19, v21, v17 :: v_dual_mov_b32 v21, 0
	s_delay_alu instid0(VALU_DEP_1) | instskip(NEXT) | instid1(VALU_DEP_1)
	v_dual_fma_f32 v15, -v15, v19, v20 :: v_dual_mov_b32 v20, v22
	v_div_fmas_f32 v15, v15, v17, v19
	s_delay_alu instid0(VALU_DEP_1) | instskip(NEXT) | instid1(VALU_DEP_1)
	v_div_fixup_f32 v17, v15, v18, v11
	v_dual_mul_f32 v15, v11, v17 :: v_dual_mul_f32 v25, v17, v17
	v_mov_b32_e32 v17, v14
	s_delay_alu instid0(VALU_DEP_2) | instskip(NEXT) | instid1(VALU_DEP_1)
	v_pk_add_f32 v[32:33], v[14:15], v[20:21]
	v_mov_b32_e32 v24, v33
	s_delay_alu instid0(VALU_DEP_1) | instskip(NEXT) | instid1(VALU_DEP_1)
	v_pk_add_f32 v[20:21], v[22:23], v[24:25]
	v_pk_mul_f32 v[34:35], v[34:35], v[20:21]
	s_delay_alu instid0(VALU_DEP_1) | instskip(NEXT) | instid1(VALU_DEP_1)
	v_sub_f32_e32 v20, v35, v34
	v_pk_add_f32 v[34:35], v[20:21], v[32:33] op_sel_hi:[0,1] neg_lo:[0,1] neg_hi:[0,1]
	v_dual_mov_b32 v34, v33 :: v_dual_mov_b32 v20, v33
	s_delay_alu instid0(VALU_DEP_1) | instskip(NEXT) | instid1(VALU_DEP_1)
	v_pk_add_f32 v[16:17], v[16:17], v[34:35]
	v_add_f32_e32 v11, v16, v17
	s_delay_alu instid0(VALU_DEP_3) | instskip(NEXT) | instid1(VALU_DEP_2)
	v_pk_add_f32 v[16:17], v[32:33], v[20:21]
	v_dual_mov_b32 v17, v14 :: v_dual_mul_f32 v11, s24, v11
	s_wait_xcnt 0x0
	s_delay_alu instid0(VALU_DEP_1)
	v_cmpx_nle_f32_e64 |v16|, v11
	s_cbranch_execz .LBB21_206
; %bb.165:
	global_load_b32 v22, v[8:9], off offset:-8
	v_cmp_lt_f32_e32 vcc_lo, 0, v16
	v_cmp_lt_f32_e64 s1, v27, v29
	s_mov_b32 s5, exec_lo
	s_and_b32 s1, s1, vcc_lo
	s_wait_loadcnt 0x0
	v_fma_f32 v11, -v23, v22, v16
                                        ; implicit-def: $vgpr23
	s_delay_alu instid0(VALU_DEP_1) | instskip(SKIP_1) | instid1(VALU_DEP_1)
	v_fma_f32 v11, -v18, v25, v11
	s_wait_xcnt 0x0
	v_cmpx_neq_f32_e32 0, v11
	s_xor_b32 s5, exec_lo, s5
	s_cbranch_execz .LBB21_171
; %bb.166:
	v_dual_add_f32 v23, v18, v22 :: v_dual_mov_b32 v19, v16
	s_delay_alu instid0(VALU_DEP_1) | instskip(NEXT) | instid1(VALU_DEP_1)
	v_pk_mul_f32 v[22:23], v[18:19], v[22:23]
	v_dual_fma_f32 v15, -v21, v22, v23 :: v_dual_mul_f32 v19, v22, v16
	s_delay_alu instid0(VALU_DEP_1) | instskip(NEXT) | instid1(VALU_DEP_2)
	v_mul_f32_e32 v20, v15, v15
	v_mul_f32_e32 v22, -4.0, v19
	s_delay_alu instid0(VALU_DEP_1) | instskip(NEXT) | instid1(VALU_DEP_1)
	v_fma_f32 v20, v22, |v11|, v20
	v_mul_f32_e64 v22, 0x4f800000, |v20|
	v_cmp_gt_f32_e64 vcc_lo, 0xf800000, |v20|
	s_delay_alu instid0(VALU_DEP_1) | instskip(NEXT) | instid1(VALU_DEP_1)
	v_cndmask_b32_e64 v20, |v20|, v22, vcc_lo
	v_sqrt_f32_e32 v22, v20
	v_nop
	s_delay_alu instid0(TRANS32_DEP_1) | instskip(NEXT) | instid1(VALU_DEP_1)
	v_dual_add_nc_u32 v23, -1, v22 :: v_dual_add_nc_u32 v24, 1, v22
	v_fma_f32 v25, -v23, v22, v20
	s_delay_alu instid0(VALU_DEP_1) | instskip(NEXT) | instid1(VALU_DEP_1)
	v_cmp_ge_f32_e64 s2, 0, v25
	v_dual_fma_f32 v28, -v24, v22, v20 :: v_dual_cndmask_b32 v22, v22, v23, s2
	s_delay_alu instid0(VALU_DEP_1) | instskip(NEXT) | instid1(VALU_DEP_1)
	v_cmp_lt_f32_e64 s2, 0, v28
	v_cndmask_b32_e64 v22, v22, v24, s2
	s_mov_b32 s2, exec_lo
	s_delay_alu instid0(VALU_DEP_1) | instskip(NEXT) | instid1(VALU_DEP_1)
	v_mul_f32_e32 v23, 0x37800000, v22
	v_cndmask_b32_e32 v22, v22, v23, vcc_lo
	v_cmp_class_f32_e64 vcc_lo, v20, 0x260
                                        ; implicit-def: $vgpr23
	s_delay_alu instid0(VALU_DEP_2)
	v_cndmask_b32_e32 v20, v22, v20, vcc_lo
	v_cmpx_le_f32_e32 0, v15
	s_xor_b32 s2, exec_lo, s2
	s_cbranch_execz .LBB21_168
; %bb.167:
	s_delay_alu instid0(VALU_DEP_2) | instskip(SKIP_1) | instid1(VALU_DEP_1)
	v_add_f32_e32 v15, v15, v20
	v_add_f32_e64 v11, |v11|, |v11|
	v_div_scale_f32 v19, null, v11, v11, v15
	s_delay_alu instid0(VALU_DEP_1) | instskip(SKIP_1) | instid1(TRANS32_DEP_1)
	v_rcp_f32_e32 v20, v19
	v_nop
	v_fma_f32 v22, -v19, v20, 1.0
	s_delay_alu instid0(VALU_DEP_1) | instskip(SKIP_1) | instid1(VALU_DEP_1)
	v_fmac_f32_e32 v20, v22, v20
	v_div_scale_f32 v22, vcc_lo, v15, v11, v15
	v_mul_f32_e32 v23, v22, v20
	s_delay_alu instid0(VALU_DEP_1) | instskip(NEXT) | instid1(VALU_DEP_1)
	v_fma_f32 v24, -v19, v23, v22
	v_fmac_f32_e32 v23, v24, v20
	s_delay_alu instid0(VALU_DEP_1) | instskip(NEXT) | instid1(VALU_DEP_1)
	v_fma_f32 v19, -v19, v23, v22
	v_div_fmas_f32 v19, v19, v20, v23
                                        ; implicit-def: $vgpr20
	s_delay_alu instid0(VALU_DEP_1)
	v_div_fixup_f32 v23, v19, v11, v15
                                        ; implicit-def: $vgpr19
                                        ; implicit-def: $vgpr15
.LBB21_168:
	s_and_not1_saveexec_b32 s2, s2
	s_cbranch_execz .LBB21_170
; %bb.169:
	v_add_f32_e32 v11, v19, v19
	v_sub_f32_e32 v15, v15, v20
	s_delay_alu instid0(VALU_DEP_1) | instskip(NEXT) | instid1(VALU_DEP_1)
	v_div_scale_f32 v19, null, v15, v15, v11
	v_rcp_f32_e32 v20, v19
	v_nop
	s_delay_alu instid0(TRANS32_DEP_1) | instskip(NEXT) | instid1(VALU_DEP_1)
	v_fma_f32 v22, -v19, v20, 1.0
	v_fmac_f32_e32 v20, v22, v20
	v_div_scale_f32 v22, vcc_lo, v11, v15, v11
	s_delay_alu instid0(VALU_DEP_1) | instskip(NEXT) | instid1(VALU_DEP_1)
	v_mul_f32_e32 v23, v22, v20
	v_fma_f32 v24, -v19, v23, v22
	s_delay_alu instid0(VALU_DEP_1) | instskip(NEXT) | instid1(VALU_DEP_1)
	v_fmac_f32_e32 v23, v24, v20
	v_fma_f32 v19, -v19, v23, v22
	s_delay_alu instid0(VALU_DEP_1) | instskip(NEXT) | instid1(VALU_DEP_1)
	v_div_fmas_f32 v19, v19, v20, v23
	v_div_fixup_f32 v23, v19, v15, v11
.LBB21_170:
	s_or_b32 exec_lo, exec_lo, s2
.LBB21_171:
	s_or_saveexec_b32 s2, s5
	v_cndmask_b32_e64 v11, v29, v27, s1
	s_xor_b32 exec_lo, exec_lo, s2
; %bb.172:
	s_delay_alu instid0(VALU_DEP_1)
	v_sub_f32_e32 v23, v11, v27
; %bb.173:
	s_or_b32 exec_lo, exec_lo, s2
	s_delay_alu instid0(VALU_DEP_1) | instskip(SKIP_1) | instid1(VALU_DEP_1)
	v_mul_f32_e32 v15, v16, v23
	s_mov_b32 s1, exec_lo
	v_cmpx_lt_f32_e32 0, v15
	s_cbranch_execz .LBB21_175
; %bb.174:
	v_div_scale_f32 v15, null, v21, v21, -v16
	s_delay_alu instid0(VALU_DEP_1) | instskip(SKIP_1) | instid1(TRANS32_DEP_1)
	v_rcp_f32_e32 v19, v15
	v_nop
	v_fma_f32 v20, -v15, v19, 1.0
	s_delay_alu instid0(VALU_DEP_1) | instskip(SKIP_1) | instid1(VALU_DEP_1)
	v_fmac_f32_e32 v19, v20, v19
	v_div_scale_f32 v20, vcc_lo, -v16, v21, -v16
	v_mul_f32_e32 v22, v20, v19
	s_delay_alu instid0(VALU_DEP_1) | instskip(NEXT) | instid1(VALU_DEP_1)
	v_fma_f32 v23, -v15, v22, v20
	v_fmac_f32_e32 v22, v23, v19
	s_delay_alu instid0(VALU_DEP_1) | instskip(NEXT) | instid1(VALU_DEP_1)
	v_fma_f32 v15, -v15, v22, v20
	v_div_fmas_f32 v15, v15, v19, v22
	s_delay_alu instid0(VALU_DEP_1)
	v_div_fixup_f32 v23, v15, v21, -v16
.LBB21_175:
	s_or_b32 exec_lo, exec_lo, s1
	v_cmp_lt_f32_e32 vcc_lo, v30, v27
	s_delay_alu instid0(VALU_DEP_2) | instskip(SKIP_2) | instid1(VALU_DEP_2)
	v_add_f32_e32 v19, v27, v23
	v_cndmask_b32_e32 v15, v30, v27, vcc_lo
	v_cmp_nge_f32_e32 vcc_lo, 0, v16
	v_cndmask_b32_e32 v32, v15, v30, vcc_lo
	s_delay_alu instid0(VALU_DEP_4) | instskip(NEXT) | instid1(VALU_DEP_2)
	v_cmp_gt_f32_e32 vcc_lo, v19, v11
	v_cmp_lt_f32_e64 s1, v19, v32
	s_or_b32 s2, vcc_lo, s1
	s_delay_alu instid0(SALU_CYCLE_1)
	s_and_saveexec_b32 s1, s2
	s_cbranch_execz .LBB21_181
; %bb.176:
	s_mov_b32 s2, exec_lo
                                        ; implicit-def: $vgpr23
	v_cmpx_ngt_f32_e32 0, v16
	s_xor_b32 s2, exec_lo, s2
; %bb.177:
	v_sub_f32_e32 v15, v32, v27
	s_delay_alu instid0(VALU_DEP_1)
	v_mul_f32_e32 v23, 0.5, v15
; %bb.178:
	s_and_not1_saveexec_b32 s2, s2
; %bb.179:
	v_sub_f32_e32 v15, v11, v27
	s_delay_alu instid0(VALU_DEP_1)
	v_mul_f32_e32 v23, 0.5, v15
; %bb.180:
	s_or_b32 exec_lo, exec_lo, s2
.LBB21_181:
	s_delay_alu instid0(SALU_CYCLE_1) | instskip(SKIP_1) | instid1(VALU_DEP_1)
	s_or_b32 exec_lo, exec_lo, s1
	v_mov_b32_e32 v25, 0
	v_dual_mov_b32 v24, v25 :: v_dual_mov_b32 v16, v25
	s_and_saveexec_b32 s1, s0
	s_cbranch_execz .LBB21_185
; %bb.182:
	v_dual_mov_b32 v15, 0 :: v_dual_mov_b32 v16, v26
	v_mov_b64_e32 v[18:19], v[6:7]
	v_mov_b64_e32 v[20:21], v[2:3]
	s_delay_alu instid0(VALU_DEP_3)
	v_dual_mov_b32 v24, 0 :: v_dual_mov_b32 v25, v15
	s_mov_b32 s2, 0
.LBB21_183:                             ; =>This Inner Loop Header: Depth=1
	global_load_b32 v22, v[20:21], off
	s_wait_loadcnt 0x0
	v_dual_add_nc_u32 v16, -1, v16 :: v_dual_sub_f32 v22, v22, v23
	global_store_b32 v[20:21], v22, off
	global_load_b32 v28, v[18:19], off
	s_wait_xcnt 0x1
	v_add_nc_u64_e32 v[20:21], 4, v[20:21]
	s_wait_xcnt 0x0
	v_add_nc_u64_e32 v[18:19], 4, v[18:19]
	s_wait_loadcnt 0x0
	v_div_scale_f32 v29, null, v22, v22, v28
	s_delay_alu instid0(VALU_DEP_1) | instskip(SKIP_1) | instid1(TRANS32_DEP_1)
	v_rcp_f32_e32 v30, v29
	v_nop
	v_fma_f32 v31, -v29, v30, 1.0
	s_delay_alu instid0(VALU_DEP_1) | instskip(SKIP_1) | instid1(VALU_DEP_1)
	v_fmac_f32_e32 v30, v31, v30
	v_div_scale_f32 v33, vcc_lo, v28, v22, v28
	v_mul_f32_e32 v31, v33, v30
	s_delay_alu instid0(VALU_DEP_1) | instskip(NEXT) | instid1(VALU_DEP_1)
	v_fma_f32 v34, -v29, v31, v33
	v_fmac_f32_e32 v31, v34, v30
	s_delay_alu instid0(VALU_DEP_1) | instskip(NEXT) | instid1(VALU_DEP_1)
	v_fma_f32 v29, -v29, v31, v33
	v_div_fmas_f32 v29, v29, v30, v31
	v_cmp_eq_u32_e32 vcc_lo, 0, v16
	s_delay_alu instid0(VALU_DEP_2) | instskip(SKIP_1) | instid1(VALU_DEP_1)
	v_div_fixup_f32 v29, v29, v22, v28
	s_or_b32 s2, vcc_lo, s2
	v_mov_b32_e32 v22, v29
	s_delay_alu instid0(VALU_DEP_1) | instskip(NEXT) | instid1(VALU_DEP_1)
	v_pk_fma_f32 v[24:25], v[28:29], v[22:23], v[24:25] op_sel_hi:[1,0,1]
	v_add_f32_e32 v15, v15, v24
	s_and_not1_b32 exec_lo, exec_lo, s2
	s_cbranch_execnz .LBB21_183
; %bb.184:
	s_or_b32 exec_lo, exec_lo, s2
	global_load_b32 v18, v[4:5], off
	v_and_b32_e32 v16, 0x7fffffff, v15
.LBB21_185:
	s_wait_xcnt 0x0
	s_or_b32 exec_lo, exec_lo, s1
	s_wait_loadcnt 0x0
	v_sub_f32_e32 v22, v18, v23
	s_mov_b32 s5, exec_lo
	v_add_f32_e32 v27, v27, v23
	global_store_b32 v[4:5], v22, off
	global_load_b32 v15, v[12:13], off
	v_and_b32_e32 v37, 0x7fffffff, v27
	s_wait_loadcnt 0x0
	v_div_scale_f32 v18, null, v22, v22, v15
	v_div_scale_f32 v21, vcc_lo, v15, v22, v15
	s_delay_alu instid0(VALU_DEP_2) | instskip(SKIP_1) | instid1(TRANS32_DEP_1)
	v_rcp_f32_e32 v19, v18
	v_nop
	v_fma_f32 v20, -v18, v19, 1.0
	s_delay_alu instid0(VALU_DEP_1) | instskip(NEXT) | instid1(VALU_DEP_1)
	v_fmac_f32_e32 v19, v20, v19
	v_mul_f32_e32 v20, v21, v19
	s_delay_alu instid0(VALU_DEP_1) | instskip(NEXT) | instid1(VALU_DEP_1)
	v_fma_f32 v28, -v18, v20, v21
	v_fmac_f32_e32 v20, v28, v19
	s_delay_alu instid0(VALU_DEP_1) | instskip(SKIP_1) | instid1(VALU_DEP_2)
	v_fma_f32 v18, -v18, v20, v21
	v_mov_b32_e32 v21, 0x41000000
	v_div_fmas_f32 v18, v18, v19, v20
	s_delay_alu instid0(VALU_DEP_2) | instskip(NEXT) | instid1(VALU_DEP_2)
	v_dual_mov_b32 v19, 0 :: v_dual_mov_b32 v36, v21
	v_div_fixup_f32 v20, v18, v22, v15
	s_delay_alu instid0(VALU_DEP_1) | instskip(SKIP_1) | instid1(VALU_DEP_2)
	v_dual_mov_b32 v18, v24 :: v_dual_mul_f32 v15, v15, v20
	v_mul_f32_e32 v28, v20, v20
	v_pk_add_f32 v[30:31], v[14:15], v[18:19]
	s_delay_alu instid0(VALU_DEP_1) | instskip(NEXT) | instid1(VALU_DEP_1)
	v_dual_mov_b32 v35, v28 :: v_dual_mov_b32 v34, v31
	v_pk_add_f32 v[34:35], v[24:25], v[34:35]
	s_delay_alu instid0(VALU_DEP_1) | instskip(NEXT) | instid1(VALU_DEP_1)
	v_pk_mul_f32 v[34:35], v[36:37], v[34:35]
	v_sub_f32_e32 v18, v35, v34
	s_delay_alu instid0(VALU_DEP_1) | instskip(SKIP_1) | instid1(VALU_DEP_1)
	v_pk_add_f32 v[34:35], v[18:19], v[30:31] op_sel_hi:[0,1] neg_lo:[0,1] neg_hi:[0,1]
	v_mov_b32_e32 v34, v31
	v_pk_add_f32 v[34:35], v[16:17], v[34:35]
	s_delay_alu instid0(VALU_DEP_1) | instskip(NEXT) | instid1(VALU_DEP_1)
	v_dual_mov_b32 v16, v31 :: v_dual_add_f32 v15, v34, v35
	v_pk_add_f32 v[30:31], v[30:31], v[16:17]
	s_delay_alu instid0(VALU_DEP_2) | instskip(SKIP_1) | instid1(VALU_DEP_1)
	v_mul_f32_e32 v15, s24, v15
	s_wait_xcnt 0x0
	v_cmpx_nle_f32_e64 |v30|, v15
	s_cbranch_execz .LBB21_205
; %bb.186:
	v_dual_mov_b32 v24, v25 :: v_dual_mov_b32 v23, v30
	s_mov_b32 s7, 1
	s_mov_b32 s6, 0
	s_branch .LBB21_188
.LBB21_187:                             ;   in Loop: Header=BB21_188 Depth=1
	s_wait_xcnt 0x0
	s_or_b32 exec_lo, exec_lo, s1
	s_wait_loadcnt 0x0
	v_dual_sub_f32 v22, v22, v20 :: v_dual_add_f32 v27, v27, v20
	s_add_co_i32 s1, s7, 1
	s_cmp_gt_u32 s7, 48
	s_cselect_b32 s7, -1, 0
	global_store_b32 v[4:5], v22, off
	global_load_b32 v15, v[12:13], off
	v_and_b32_e32 v20, 0x7fffffff, v27
	s_wait_loadcnt 0x0
	v_div_scale_f32 v18, null, v22, v22, v15
	s_delay_alu instid0(VALU_DEP_1) | instskip(SKIP_1) | instid1(TRANS32_DEP_1)
	v_rcp_f32_e32 v23, v18
	v_nop
	v_fma_f32 v28, -v18, v23, 1.0
	s_delay_alu instid0(VALU_DEP_1) | instskip(SKIP_1) | instid1(VALU_DEP_1)
	v_fmac_f32_e32 v23, v28, v23
	v_div_scale_f32 v29, vcc_lo, v15, v22, v15
	v_mul_f32_e32 v28, v29, v23
	s_delay_alu instid0(VALU_DEP_1) | instskip(NEXT) | instid1(VALU_DEP_1)
	v_fma_f32 v30, -v18, v28, v29
	v_fmac_f32_e32 v28, v30, v23
	s_delay_alu instid0(VALU_DEP_1) | instskip(NEXT) | instid1(VALU_DEP_1)
	v_fma_f32 v18, -v18, v28, v29
	v_div_fmas_f32 v18, v18, v23, v28
	s_delay_alu instid0(VALU_DEP_1) | instskip(NEXT) | instid1(VALU_DEP_1)
	v_div_fixup_f32 v23, v18, v22, v15
	v_dual_mov_b32 v18, v25 :: v_dual_mul_f32 v15, v15, v23
	v_mul_f32_e32 v28, v23, v23
	s_delay_alu instid0(VALU_DEP_2) | instskip(NEXT) | instid1(VALU_DEP_1)
	v_pk_add_f32 v[30:31], v[14:15], v[18:19]
	v_mov_b32_e32 v29, v31
	s_delay_alu instid0(VALU_DEP_1) | instskip(NEXT) | instid1(VALU_DEP_1)
	v_pk_add_f32 v[34:35], v[24:25], v[28:29]
	v_pk_mul_f32 v[34:35], v[20:21], v[34:35]
	s_delay_alu instid0(VALU_DEP_1) | instskip(NEXT) | instid1(VALU_DEP_1)
	v_sub_f32_e32 v18, v34, v35
	v_pk_add_f32 v[34:35], v[18:19], v[30:31] op_sel_hi:[0,1] neg_lo:[0,1] neg_hi:[0,1]
	v_dual_mov_b32 v34, v31 :: v_dual_mov_b32 v18, v31
	s_delay_alu instid0(VALU_DEP_1) | instskip(NEXT) | instid1(VALU_DEP_2)
	v_pk_add_f32 v[34:35], v[16:17], v[34:35]
	v_pk_add_f32 v[30:31], v[30:31], v[18:19]
	s_delay_alu instid0(VALU_DEP_1) | instskip(NEXT) | instid1(VALU_DEP_1)
	v_dual_mov_b32 v16, v35 :: v_dual_mov_b32 v23, v30
	v_pk_add_f32 v[34:35], v[34:35], v[16:17]
	s_delay_alu instid0(VALU_DEP_1) | instskip(NEXT) | instid1(VALU_DEP_1)
	v_mul_f32_e32 v15, s24, v34
	v_cmp_le_f32_e64 s2, |v30|, v15
	s_or_b32 s2, s7, s2
	s_mov_b32 s7, s1
	s_and_b32 s2, exec_lo, s2
	s_delay_alu instid0(SALU_CYCLE_1)
	s_or_b32 s6, s2, s6
	s_wait_xcnt 0x0
	s_and_not1_b32 exec_lo, exec_lo, s6
	s_cbranch_execz .LBB21_204
.LBB21_188:                             ; =>This Loop Header: Depth=1
                                        ;     Child Loop BB21_202 Depth 2
	global_load_b32 v30, v[8:9], off offset:-8
	s_wait_loadcnt 0x0
	v_dual_add_f32 v15, v28, v24 :: v_dual_add_f32 v31, v22, v30
	s_delay_alu instid0(VALU_DEP_1) | instskip(NEXT) | instid1(VALU_DEP_1)
	v_pk_mul_f32 v[34:35], v[22:23], v[30:31]
	v_dual_fma_f32 v20, -v24, v30, v23 :: v_dual_mul_f32 v18, v34, v23
	s_delay_alu instid0(VALU_DEP_1) | instskip(NEXT) | instid1(VALU_DEP_1)
	v_dual_fma_f32 v16, -v15, v34, v35 :: v_dual_fma_f32 v24, -v22, v28, v20
	v_dual_mul_f32 v25, -4.0, v18 :: v_dual_mul_f32 v20, v16, v16
	s_delay_alu instid0(VALU_DEP_1) | instskip(NEXT) | instid1(VALU_DEP_1)
	v_fmac_f32_e32 v20, v25, v24
	v_mul_f32_e64 v25, 0x4f800000, |v20|
	v_cmp_gt_f32_e64 vcc_lo, 0xf800000, |v20|
	s_delay_alu instid0(VALU_DEP_1) | instskip(NEXT) | instid1(VALU_DEP_1)
	v_cndmask_b32_e64 v20, |v20|, v25, vcc_lo
	v_sqrt_f32_e32 v25, v20
	v_nop
	s_delay_alu instid0(TRANS32_DEP_1) | instskip(NEXT) | instid1(VALU_DEP_1)
	v_dual_add_nc_u32 v28, -1, v25 :: v_dual_add_nc_u32 v29, 1, v25
	v_dual_fma_f32 v30, -v28, v25, v20 :: v_dual_fma_f32 v31, -v29, v25, v20
	s_delay_alu instid0(VALU_DEP_1) | instskip(NEXT) | instid1(VALU_DEP_1)
	v_cmp_ge_f32_e64 s1, 0, v30
	v_cndmask_b32_e64 v25, v25, v28, s1
	s_delay_alu instid0(VALU_DEP_3) | instskip(NEXT) | instid1(VALU_DEP_1)
	v_cmp_lt_f32_e64 s1, 0, v31
	v_cndmask_b32_e64 v25, v25, v29, s1
	s_mov_b32 s1, exec_lo
	s_delay_alu instid0(VALU_DEP_1) | instskip(NEXT) | instid1(VALU_DEP_1)
	v_mul_f32_e32 v28, 0x37800000, v25
	v_cndmask_b32_e32 v25, v25, v28, vcc_lo
	v_cmp_class_f32_e64 vcc_lo, v20, 0x260
	s_delay_alu instid0(VALU_DEP_2)
	v_cndmask_b32_e32 v25, v25, v20, vcc_lo
                                        ; implicit-def: $vgpr20
	s_wait_xcnt 0x0
	v_cmpx_le_f32_e32 0, v16
	s_xor_b32 s1, exec_lo, s1
	s_cbranch_execz .LBB21_190
; %bb.189:                              ;   in Loop: Header=BB21_188 Depth=1
	v_add_f32_e32 v16, v16, v25
	v_add_f32_e32 v18, v24, v24
	s_delay_alu instid0(VALU_DEP_1) | instskip(NEXT) | instid1(VALU_DEP_1)
	v_div_scale_f32 v20, null, v18, v18, v16
	v_rcp_f32_e32 v24, v20
	v_nop
	s_delay_alu instid0(TRANS32_DEP_1) | instskip(NEXT) | instid1(VALU_DEP_1)
	v_fma_f32 v25, -v20, v24, 1.0
	v_fmac_f32_e32 v24, v25, v24
	v_div_scale_f32 v25, vcc_lo, v16, v18, v16
	s_delay_alu instid0(VALU_DEP_1) | instskip(NEXT) | instid1(VALU_DEP_1)
	v_mul_f32_e32 v28, v25, v24
	v_fma_f32 v29, -v20, v28, v25
	s_delay_alu instid0(VALU_DEP_1) | instskip(NEXT) | instid1(VALU_DEP_1)
	v_fmac_f32_e32 v28, v29, v24
	v_fma_f32 v20, -v20, v28, v25
                                        ; implicit-def: $vgpr25
	s_delay_alu instid0(VALU_DEP_1) | instskip(NEXT) | instid1(VALU_DEP_1)
	v_div_fmas_f32 v20, v20, v24, v28
	v_div_fixup_f32 v20, v20, v18, v16
                                        ; implicit-def: $vgpr18
                                        ; implicit-def: $vgpr16
.LBB21_190:                             ;   in Loop: Header=BB21_188 Depth=1
	s_and_not1_saveexec_b32 s1, s1
	s_cbranch_execz .LBB21_192
; %bb.191:                              ;   in Loop: Header=BB21_188 Depth=1
	v_dual_add_f32 v18, v18, v18 :: v_dual_sub_f32 v16, v16, v25
	s_delay_alu instid0(VALU_DEP_1) | instskip(NEXT) | instid1(VALU_DEP_1)
	v_div_scale_f32 v20, null, v16, v16, v18
	v_rcp_f32_e32 v24, v20
	v_nop
	s_delay_alu instid0(TRANS32_DEP_1) | instskip(NEXT) | instid1(VALU_DEP_1)
	v_fma_f32 v25, -v20, v24, 1.0
	v_fmac_f32_e32 v24, v25, v24
	v_div_scale_f32 v25, vcc_lo, v18, v16, v18
	s_delay_alu instid0(VALU_DEP_1) | instskip(NEXT) | instid1(VALU_DEP_1)
	v_mul_f32_e32 v28, v25, v24
	v_fma_f32 v29, -v20, v28, v25
	s_delay_alu instid0(VALU_DEP_1) | instskip(NEXT) | instid1(VALU_DEP_1)
	v_fmac_f32_e32 v28, v29, v24
	v_fma_f32 v20, -v20, v28, v25
	s_delay_alu instid0(VALU_DEP_1) | instskip(NEXT) | instid1(VALU_DEP_1)
	v_div_fmas_f32 v20, v20, v24, v28
	v_div_fixup_f32 v20, v20, v16, v18
.LBB21_192:                             ;   in Loop: Header=BB21_188 Depth=1
	s_or_b32 exec_lo, exec_lo, s1
	s_delay_alu instid0(VALU_DEP_1) | instskip(SKIP_1) | instid1(VALU_DEP_1)
	v_mul_f32_e32 v16, v23, v20
	s_mov_b32 s1, exec_lo
	v_cmpx_lt_f32_e32 0, v16
	s_cbranch_execz .LBB21_194
; %bb.193:                              ;   in Loop: Header=BB21_188 Depth=1
	v_div_scale_f32 v16, null, v15, v15, -v23
	s_delay_alu instid0(VALU_DEP_1) | instskip(SKIP_1) | instid1(TRANS32_DEP_1)
	v_rcp_f32_e32 v18, v16
	v_nop
	v_fma_f32 v20, -v16, v18, 1.0
	s_delay_alu instid0(VALU_DEP_1) | instskip(SKIP_1) | instid1(VALU_DEP_1)
	v_fmac_f32_e32 v18, v20, v18
	v_div_scale_f32 v20, vcc_lo, -v23, v15, -v23
	v_mul_f32_e32 v24, v20, v18
	s_delay_alu instid0(VALU_DEP_1) | instskip(NEXT) | instid1(VALU_DEP_1)
	v_fma_f32 v25, -v16, v24, v20
	v_fmac_f32_e32 v24, v25, v18
	s_delay_alu instid0(VALU_DEP_1) | instskip(NEXT) | instid1(VALU_DEP_1)
	v_fma_f32 v16, -v16, v24, v20
	v_div_fmas_f32 v16, v16, v18, v24
	s_delay_alu instid0(VALU_DEP_1)
	v_div_fixup_f32 v20, v16, v15, -v23
.LBB21_194:                             ;   in Loop: Header=BB21_188 Depth=1
	s_or_b32 exec_lo, exec_lo, s1
	v_cmp_lt_f32_e32 vcc_lo, 0, v23
	v_cmp_lt_f32_e64 s1, v27, v11
	v_cmp_lt_f32_e64 s2, v32, v27
	v_add_f32_e32 v16, v27, v20
	s_and_b32 vcc_lo, vcc_lo, s1
	s_delay_alu instid0(SALU_CYCLE_1) | instskip(SKIP_1) | instid1(VALU_DEP_2)
	v_dual_cndmask_b32 v15, v32, v27, s2 :: v_dual_cndmask_b32 v11, v11, v27, vcc_lo
	v_cmp_nge_f32_e32 vcc_lo, 0, v23
	v_cndmask_b32_e32 v32, v15, v32, vcc_lo
	s_delay_alu instid0(VALU_DEP_3) | instskip(NEXT) | instid1(VALU_DEP_2)
	v_cmp_gt_f32_e32 vcc_lo, v16, v11
	v_cmp_lt_f32_e64 s1, v16, v32
	s_or_b32 s2, vcc_lo, s1
	s_delay_alu instid0(SALU_CYCLE_1)
	s_and_saveexec_b32 s1, s2
	s_cbranch_execz .LBB21_200
; %bb.195:                              ;   in Loop: Header=BB21_188 Depth=1
	s_mov_b32 s2, exec_lo
                                        ; implicit-def: $vgpr20
	v_cmpx_ngt_f32_e32 0, v23
	s_xor_b32 s2, exec_lo, s2
; %bb.196:                              ;   in Loop: Header=BB21_188 Depth=1
	v_sub_f32_e32 v15, v32, v27
	s_delay_alu instid0(VALU_DEP_1)
	v_mul_f32_e32 v20, 0.5, v15
; %bb.197:                              ;   in Loop: Header=BB21_188 Depth=1
	s_and_not1_saveexec_b32 s2, s2
; %bb.198:                              ;   in Loop: Header=BB21_188 Depth=1
	v_sub_f32_e32 v15, v11, v27
	s_delay_alu instid0(VALU_DEP_1)
	v_mul_f32_e32 v20, 0.5, v15
; %bb.199:                              ;   in Loop: Header=BB21_188 Depth=1
	s_or_b32 exec_lo, exec_lo, s2
.LBB21_200:                             ;   in Loop: Header=BB21_188 Depth=1
	s_delay_alu instid0(SALU_CYCLE_1) | instskip(SKIP_1) | instid1(VALU_DEP_1)
	s_or_b32 exec_lo, exec_lo, s1
	v_mov_b32_e32 v25, 0
	v_dual_mov_b32 v24, v25 :: v_dual_mov_b32 v16, v25
	s_and_saveexec_b32 s1, s0
	s_cbranch_execz .LBB21_187
; %bb.201:                              ;   in Loop: Header=BB21_188 Depth=1
	v_dual_mov_b32 v15, 0 :: v_dual_mov_b32 v16, v26
	v_mov_b64_e32 v[22:23], v[6:7]
	v_mov_b64_e32 v[28:29], v[2:3]
	s_delay_alu instid0(VALU_DEP_3)
	v_dual_mov_b32 v24, 0 :: v_dual_mov_b32 v25, v15
	s_mov_b32 s2, 0
.LBB21_202:                             ;   Parent Loop BB21_188 Depth=1
                                        ; =>  This Inner Loop Header: Depth=2
	global_load_b32 v18, v[28:29], off
	v_add_nc_u32_e32 v16, -1, v16
	s_wait_loadcnt 0x0
	v_sub_f32_e32 v18, v18, v20
	global_store_b32 v[28:29], v18, off
	global_load_b32 v31, v[22:23], off
	s_wait_xcnt 0x1
	v_add_nc_u64_e32 v[28:29], 4, v[28:29]
	s_wait_xcnt 0x0
	v_add_nc_u64_e32 v[22:23], 4, v[22:23]
	s_wait_loadcnt 0x0
	v_div_scale_f32 v30, null, v18, v18, v31
	v_div_scale_f32 v35, vcc_lo, v31, v18, v31
	s_delay_alu instid0(VALU_DEP_2) | instskip(SKIP_1) | instid1(TRANS32_DEP_1)
	v_rcp_f32_e32 v33, v30
	v_nop
	v_fma_f32 v34, -v30, v33, 1.0
	s_delay_alu instid0(VALU_DEP_1) | instskip(NEXT) | instid1(VALU_DEP_1)
	v_fmac_f32_e32 v33, v34, v33
	v_mul_f32_e32 v34, v35, v33
	s_delay_alu instid0(VALU_DEP_1) | instskip(NEXT) | instid1(VALU_DEP_1)
	v_fma_f32 v36, -v30, v34, v35
	v_fmac_f32_e32 v34, v36, v33
	s_delay_alu instid0(VALU_DEP_1) | instskip(NEXT) | instid1(VALU_DEP_1)
	v_fma_f32 v30, -v30, v34, v35
	v_div_fmas_f32 v30, v30, v33, v34
	v_cmp_eq_u32_e32 vcc_lo, 0, v16
	s_delay_alu instid0(VALU_DEP_2) | instskip(SKIP_1) | instid1(VALU_DEP_1)
	v_div_fixup_f32 v30, v30, v18, v31
	s_or_b32 s2, vcc_lo, s2
	v_pk_fma_f32 v[24:25], v[30:31], v[30:31], v[24:25] op_sel_hi:[1,0,1]
	s_delay_alu instid0(VALU_DEP_1)
	v_add_f32_e32 v15, v15, v25
	s_and_not1_b32 exec_lo, exec_lo, s2
	s_cbranch_execnz .LBB21_202
; %bb.203:                              ;   in Loop: Header=BB21_188 Depth=1
	s_or_b32 exec_lo, exec_lo, s2
	global_load_b32 v22, v[4:5], off
	v_and_b32_e32 v16, 0x7fffffff, v15
	s_branch .LBB21_187
.LBB21_204:
	s_or_b32 exec_lo, exec_lo, s6
.LBB21_205:
	s_delay_alu instid0(SALU_CYCLE_1)
	s_or_b32 exec_lo, exec_lo, s5
.LBB21_206:
	s_delay_alu instid0(SALU_CYCLE_1)
	s_or_b32 exec_lo, exec_lo, s4
	v_add_f32_e32 v38, v10, v27
.LBB21_207:
	s_or_b32 exec_lo, exec_lo, s3
	v_lshl_add_u64 v[0:1], v[0:1], 2, s[12:13]
	s_wait_loadcnt 0x1
	v_cmp_gt_f32_e32 vcc_lo, 0, v44
	global_store_b32 v[0:1], v38, off
	s_wait_xcnt 0x0
	s_and_b32 exec_lo, exec_lo, vcc_lo
	s_cbranch_execz .LBB21_209
; %bb.208:
	v_xor_b32_e32 v2, 0x80000000, v38
	global_store_b32 v[0:1], v2, off
.LBB21_209:
	s_endpgm
	.section	.rodata,"a",@progbits
	.p2align	6, 0x0
	.amdhsa_kernel _ZN9rocsolver6v33100L30stedc_mergeValues_Solve_kernelIfEEviiPT_lS3_lS3_S3_PiS2_S2_S2_
		.amdhsa_group_segment_fixed_size 0
		.amdhsa_private_segment_fixed_size 0
		.amdhsa_kernarg_size 336
		.amdhsa_user_sgpr_count 2
		.amdhsa_user_sgpr_dispatch_ptr 0
		.amdhsa_user_sgpr_queue_ptr 0
		.amdhsa_user_sgpr_kernarg_segment_ptr 1
		.amdhsa_user_sgpr_dispatch_id 0
		.amdhsa_user_sgpr_kernarg_preload_length 0
		.amdhsa_user_sgpr_kernarg_preload_offset 0
		.amdhsa_user_sgpr_private_segment_size 0
		.amdhsa_wavefront_size32 1
		.amdhsa_uses_dynamic_stack 0
		.amdhsa_enable_private_segment 0
		.amdhsa_system_sgpr_workgroup_id_x 1
		.amdhsa_system_sgpr_workgroup_id_y 1
		.amdhsa_system_sgpr_workgroup_id_z 0
		.amdhsa_system_sgpr_workgroup_info 0
		.amdhsa_system_vgpr_workitem_id 0
		.amdhsa_next_free_vgpr 52
		.amdhsa_next_free_sgpr 28
		.amdhsa_named_barrier_count 0
		.amdhsa_reserve_vcc 1
		.amdhsa_float_round_mode_32 0
		.amdhsa_float_round_mode_16_64 0
		.amdhsa_float_denorm_mode_32 3
		.amdhsa_float_denorm_mode_16_64 3
		.amdhsa_fp16_overflow 0
		.amdhsa_memory_ordered 1
		.amdhsa_forward_progress 1
		.amdhsa_inst_pref_size 114
		.amdhsa_round_robin_scheduling 0
		.amdhsa_exception_fp_ieee_invalid_op 0
		.amdhsa_exception_fp_denorm_src 0
		.amdhsa_exception_fp_ieee_div_zero 0
		.amdhsa_exception_fp_ieee_overflow 0
		.amdhsa_exception_fp_ieee_underflow 0
		.amdhsa_exception_fp_ieee_inexact 0
		.amdhsa_exception_int_div_zero 0
	.end_amdhsa_kernel
	.section	.text._ZN9rocsolver6v33100L30stedc_mergeValues_Solve_kernelIfEEviiPT_lS3_lS3_S3_PiS2_S2_S2_,"axG",@progbits,_ZN9rocsolver6v33100L30stedc_mergeValues_Solve_kernelIfEEviiPT_lS3_lS3_S3_PiS2_S2_S2_,comdat
.Lfunc_end21:
	.size	_ZN9rocsolver6v33100L30stedc_mergeValues_Solve_kernelIfEEviiPT_lS3_lS3_S3_PiS2_S2_S2_, .Lfunc_end21-_ZN9rocsolver6v33100L30stedc_mergeValues_Solve_kernelIfEEviiPT_lS3_lS3_S3_PiS2_S2_S2_
                                        ; -- End function
	.set _ZN9rocsolver6v33100L30stedc_mergeValues_Solve_kernelIfEEviiPT_lS3_lS3_S3_PiS2_S2_S2_.num_vgpr, 52
	.set _ZN9rocsolver6v33100L30stedc_mergeValues_Solve_kernelIfEEviiPT_lS3_lS3_S3_PiS2_S2_S2_.num_agpr, 0
	.set _ZN9rocsolver6v33100L30stedc_mergeValues_Solve_kernelIfEEviiPT_lS3_lS3_S3_PiS2_S2_S2_.numbered_sgpr, 28
	.set _ZN9rocsolver6v33100L30stedc_mergeValues_Solve_kernelIfEEviiPT_lS3_lS3_S3_PiS2_S2_S2_.num_named_barrier, 0
	.set _ZN9rocsolver6v33100L30stedc_mergeValues_Solve_kernelIfEEviiPT_lS3_lS3_S3_PiS2_S2_S2_.private_seg_size, 0
	.set _ZN9rocsolver6v33100L30stedc_mergeValues_Solve_kernelIfEEviiPT_lS3_lS3_S3_PiS2_S2_S2_.uses_vcc, 1
	.set _ZN9rocsolver6v33100L30stedc_mergeValues_Solve_kernelIfEEviiPT_lS3_lS3_S3_PiS2_S2_S2_.uses_flat_scratch, 0
	.set _ZN9rocsolver6v33100L30stedc_mergeValues_Solve_kernelIfEEviiPT_lS3_lS3_S3_PiS2_S2_S2_.has_dyn_sized_stack, 0
	.set _ZN9rocsolver6v33100L30stedc_mergeValues_Solve_kernelIfEEviiPT_lS3_lS3_S3_PiS2_S2_S2_.has_recursion, 0
	.set _ZN9rocsolver6v33100L30stedc_mergeValues_Solve_kernelIfEEviiPT_lS3_lS3_S3_PiS2_S2_S2_.has_indirect_call, 0
	.section	.AMDGPU.csdata,"",@progbits
; Kernel info:
; codeLenInByte = 14476
; TotalNumSgprs: 30
; NumVgprs: 52
; ScratchSize: 0
; MemoryBound: 0
; FloatMode: 240
; IeeeMode: 1
; LDSByteSize: 0 bytes/workgroup (compile time only)
; SGPRBlocks: 0
; VGPRBlocks: 3
; NumSGPRsForWavesPerEU: 30
; NumVGPRsForWavesPerEU: 52
; NamedBarCnt: 0
; Occupancy: 16
; WaveLimiterHint : 1
; COMPUTE_PGM_RSRC2:SCRATCH_EN: 0
; COMPUTE_PGM_RSRC2:USER_SGPR: 2
; COMPUTE_PGM_RSRC2:TRAP_HANDLER: 0
; COMPUTE_PGM_RSRC2:TGID_X_EN: 1
; COMPUTE_PGM_RSRC2:TGID_Y_EN: 1
; COMPUTE_PGM_RSRC2:TGID_Z_EN: 0
; COMPUTE_PGM_RSRC2:TIDIG_COMP_CNT: 0
	.section	.text._ZN9rocsolver6v33100L32stedc_mergeValues_Rescale_kernelIfEEviiPT_lS3_lS3_S3_PiS2_S2_S2_,"axG",@progbits,_ZN9rocsolver6v33100L32stedc_mergeValues_Rescale_kernelIfEEviiPT_lS3_lS3_S3_PiS2_S2_S2_,comdat
	.globl	_ZN9rocsolver6v33100L32stedc_mergeValues_Rescale_kernelIfEEviiPT_lS3_lS3_S3_PiS2_S2_S2_ ; -- Begin function _ZN9rocsolver6v33100L32stedc_mergeValues_Rescale_kernelIfEEviiPT_lS3_lS3_S3_PiS2_S2_S2_
	.p2align	8
	.type	_ZN9rocsolver6v33100L32stedc_mergeValues_Rescale_kernelIfEEviiPT_lS3_lS3_S3_PiS2_S2_S2_,@function
_ZN9rocsolver6v33100L32stedc_mergeValues_Rescale_kernelIfEEviiPT_lS3_lS3_S3_PiS2_S2_S2_: ; @_ZN9rocsolver6v33100L32stedc_mergeValues_Rescale_kernelIfEEviiPT_lS3_lS3_S3_PiS2_S2_S2_
; %bb.0:
	s_clause 0x1
	s_load_b32 s2, s[0:1], 0x4
	s_load_b64 s[4:5], s[0:1], 0x38
	s_bfe_u32 s6, ttmp6, 0x4000c
	s_bfe_u32 s7, ttmp6, 0x40010
	s_add_co_i32 s6, s6, 1
	s_add_co_i32 s7, s7, 1
	s_and_b32 s3, ttmp6, 15
	s_bfe_u32 s8, ttmp6, 0x40004
	s_mul_i32 s6, ttmp9, s6
	s_mul_i32 s7, ttmp7, s7
	s_getreg_b32 s9, hwreg(HW_REG_IB_STS2, 6, 4)
	s_add_co_i32 s10, s3, s6
	s_add_co_i32 s8, s8, s7
	s_wait_kmcnt 0x0
	s_ashr_i32 s3, s2, 31
	s_cmp_eq_u32 s9, 0
	s_mul_i32 s6, s2, 6
	s_cselect_b32 s14, ttmp7, s8
	s_cselect_b32 s16, ttmp9, s10
	s_mul_i32 s18, s2, s14
	s_ashr_i32 s7, s6, 31
	s_mul_i32 s8, s18, 13
	s_lshl_b64 s[6:7], s[6:7], 2
	s_ashr_i32 s9, s8, 31
	s_ashr_i32 s17, s16, 31
	s_lshl_b64 s[8:9], s[8:9], 2
	s_lshl_b64 s[10:11], s[2:3], 2
	s_add_nc_u64 s[4:5], s[4:5], s[8:9]
	s_lshl_b64 s[12:13], s[16:17], 2
	s_add_nc_u64 s[4:5], s[4:5], s[6:7]
	s_delay_alu instid0(SALU_CYCLE_1)
	s_add_nc_u64 s[6:7], s[4:5], s[10:11]
	s_add_nc_u64 s[4:5], s[4:5], s[12:13]
	;; [unrolled: 1-line block ×3, first 2 shown]
	s_clause 0x1
	s_load_b32 s3, s[4:5], 0x0
	s_load_b32 s17, s[6:7], 0x0
	s_wait_kmcnt 0x0
	s_sub_co_i32 s4, s16, s3
	s_delay_alu instid0(SALU_CYCLE_1)
	s_cmp_ge_i32 s4, s17
	s_cbranch_scc1 .LBB22_17
; %bb.1:
	s_load_b128 s[4:7], s[0:1], 0x28
	s_mov_b32 s9, exec_lo
                                        ; implicit-def: $sgpr8
	v_cmpx_le_i32_e64 s17, v0
	s_xor_b32 s9, exec_lo, s9
; %bb.2:
	s_load_b32 s8, s[0:1], 0x5c
; %bb.3:
	s_or_saveexec_b32 s19, s9
	s_wait_kmcnt 0x0
	v_dual_mov_b32 v1, 1.0 :: v_dual_mov_b32 v3, s8
	s_xor_b32 exec_lo, exec_lo, s19
	s_cbranch_execz .LBB22_9
; %bb.4:
	s_clause 0x1
	s_load_b128 s[8:11], s[0:1], 0x8
	s_load_b32 s20, s[0:1], 0x5c
	v_dual_mov_b32 v2, v0 :: v_dual_add_nc_u32 v1, s3, v0
	s_mul_i32 s22, s18, s2
	s_ashr_i32 s15, s14, 31
	s_lshl_b32 s22, s22, 1
	s_delay_alu instid0(VALU_DEP_1)
	v_mad_u32 v3, s2, v1, s16
	s_ashr_i32 s23, s22, 31
	s_wait_xcnt 0x0
	s_mul_i32 s0, s2, s2
	s_mov_b32 s1, 0
	s_lshl_b64 s[22:23], s[22:23], 2
	v_mov_b32_e32 v1, 1.0
	s_lshl_b64 s[24:25], s[0:1], 2
	s_add_nc_u64 s[6:7], s[6:7], s[22:23]
	s_sub_co_i32 s21, s3, s16
	s_add_nc_u64 s[6:7], s[6:7], s[24:25]
	v_subrev_nc_u32_e32 v3, s3, v3
	s_wait_kmcnt 0x0
	s_mul_u64 s[10:11], s[10:11], s[14:15]
	s_and_b32 s0, s20, 0xffff
	s_lshl_b64 s[10:11], s[10:11], 2
	s_mul_i32 s14, s2, s0
	s_add_nc_u64 s[8:9], s[8:9], s[10:11]
	s_delay_alu instid0(SALU_CYCLE_1)
	s_add_nc_u64 s[10:11], s[8:9], s[12:13]
	s_branch .LBB22_6
.LBB22_5:                               ;   in Loop: Header=BB22_6 Depth=1
	s_or_b32 exec_lo, exec_lo, s15
	s_wait_loadcnt 0x0
	s_delay_alu instid0(VALU_DEP_1) | instskip(SKIP_1) | instid1(VALU_DEP_2)
	v_dual_mul_f32 v1, v1, v4 :: v_dual_add_nc_u32 v2, s0, v2
	v_add_nc_u32_e32 v3, s14, v3
	v_cmp_le_i32_e32 vcc_lo, s17, v2
	s_or_b32 s1, vcc_lo, s1
	s_delay_alu instid0(SALU_CYCLE_1)
	s_and_not1_b32 exec_lo, exec_lo, s1
	s_cbranch_execz .LBB22_8
.LBB22_6:                               ; =>This Inner Loop Header: Depth=1
	global_load_b32 v4, v3, s[6:7] scale_offset
	v_add_nc_u32_e32 v5, s21, v2
	s_mov_b32 s15, exec_lo
	s_wait_xcnt 0x0
	s_delay_alu instid0(VALU_DEP_1)
	v_cmpx_ne_u32_e32 0, v5
	s_cbranch_execz .LBB22_5
; %bb.7:                                ;   in Loop: Header=BB22_6 Depth=1
	v_add_nc_u32_e32 v5, s3, v2
	s_load_b32 s16, s[10:11], 0x0
	global_load_b32 v5, v5, s[8:9] scale_offset
	s_wait_loadcnt 0x0
	s_wait_kmcnt 0x0
	v_sub_f32_e32 v5, s16, v5
	s_delay_alu instid0(VALU_DEP_1) | instskip(NEXT) | instid1(VALU_DEP_1)
	v_div_scale_f32 v6, null, v5, v5, v4
	v_rcp_f32_e32 v7, v6
	v_nop
	s_delay_alu instid0(TRANS32_DEP_1) | instskip(NEXT) | instid1(VALU_DEP_1)
	v_fma_f32 v8, -v6, v7, 1.0
	v_fmac_f32_e32 v7, v8, v7
	v_div_scale_f32 v8, vcc_lo, v4, v5, v4
	s_delay_alu instid0(VALU_DEP_1) | instskip(NEXT) | instid1(VALU_DEP_1)
	v_mul_f32_e32 v9, v8, v7
	v_fma_f32 v10, -v6, v9, v8
	s_delay_alu instid0(VALU_DEP_1) | instskip(NEXT) | instid1(VALU_DEP_1)
	v_fmac_f32_e32 v9, v10, v7
	v_fma_f32 v6, -v6, v9, v8
	s_delay_alu instid0(VALU_DEP_1) | instskip(NEXT) | instid1(VALU_DEP_1)
	v_div_fmas_f32 v6, v6, v7, v9
	v_div_fixup_f32 v4, v6, v5, v4
	s_branch .LBB22_5
.LBB22_8:
	s_or_b32 exec_lo, exec_lo, s1
	v_mov_b32_e32 v3, s20
.LBB22_9:
	s_or_b32 exec_lo, exec_lo, s19
	v_lshlrev_b32_e32 v2, 2, v0
	s_mov_b32 s0, exec_lo
	ds_store_b32 v2, v1
	s_wait_dscnt 0x0
	s_barrier_signal -1
	s_barrier_wait -1
	v_cmpx_lt_u16_e32 1, v3
	s_cbranch_execz .LBB22_15
; %bb.10:
	v_lshrrev_b16 v3, 1, v3
	s_mov_b32 s1, 0
	s_delay_alu instid0(VALU_DEP_1)
	v_and_b32_e32 v3, 0xffff, v3
	s_branch .LBB22_12
.LBB22_11:                              ;   in Loop: Header=BB22_12 Depth=1
	s_or_b32 exec_lo, exec_lo, s3
	v_lshrrev_b32_e32 v4, 1, v3
	v_cmp_gt_u32_e32 vcc_lo, 2, v3
	s_wait_dscnt 0x0
	s_barrier_signal -1
	s_barrier_wait -1
	v_mov_b32_e32 v3, v4
	s_or_b32 s1, vcc_lo, s1
	s_delay_alu instid0(SALU_CYCLE_1)
	s_and_not1_b32 exec_lo, exec_lo, s1
	s_cbranch_execz .LBB22_14
.LBB22_12:                              ; =>This Inner Loop Header: Depth=1
	s_mov_b32 s3, exec_lo
	s_delay_alu instid0(VALU_DEP_1)
	v_cmpx_lt_u32_e64 v0, v3
	s_cbranch_execz .LBB22_11
; %bb.13:                               ;   in Loop: Header=BB22_12 Depth=1
	v_lshl_add_u32 v4, v3, 2, v2
	ds_load_b32 v4, v4
	s_wait_dscnt 0x0
	v_mul_f32_e32 v1, v1, v4
	ds_store_b32 v2, v1
	s_branch .LBB22_11
.LBB22_14:
	s_or_b32 exec_lo, exec_lo, s1
.LBB22_15:
	s_delay_alu instid0(SALU_CYCLE_1) | instskip(NEXT) | instid1(SALU_CYCLE_1)
	s_or_b32 exec_lo, exec_lo, s0
	s_mov_b32 s0, exec_lo
	v_cmpx_eq_u32_e32 0, v0
	s_cbranch_execz .LBB22_17
; %bb.16:
	v_mul_f32_e64 v0, 0x4f800000, |v1|
	v_cmp_gt_f32_e64 vcc_lo, 0xf800000, |v1|
	s_mul_i32 s0, s18, 10
	s_lshl_b32 s2, s2, 3
	s_ashr_i32 s1, s0, 31
	s_ashr_i32 s3, s2, 31
	v_cndmask_b32_e64 v0, |v1|, v0, vcc_lo
	s_lshl_b64 s[0:1], s[0:1], 2
	s_lshl_b64 s[2:3], s[2:3], 2
	s_add_nc_u64 s[0:1], s[4:5], s[0:1]
	s_delay_alu instid0(VALU_DEP_1) | instskip(SKIP_1) | instid1(SALU_CYCLE_1)
	v_sqrt_f32_e32 v1, v0
	s_add_nc_u64 s[0:1], s[0:1], s[2:3]
	s_add_nc_u64 s[2:3], s[0:1], s[12:13]
	s_load_b32 s1, s[2:3], 0x0
	v_nop
	s_delay_alu instid0(TRANS32_DEP_1) | instskip(NEXT) | instid1(VALU_DEP_1)
	v_dual_add_nc_u32 v2, -1, v1 :: v_dual_add_nc_u32 v3, 1, v1
	v_dual_fma_f32 v4, -v2, v1, v0 :: v_dual_fma_f32 v5, -v3, v1, v0
	s_delay_alu instid0(VALU_DEP_1) | instskip(NEXT) | instid1(VALU_DEP_1)
	v_cmp_ge_f32_e64 s0, 0, v4
	v_cndmask_b32_e64 v1, v1, v2, s0
	s_delay_alu instid0(VALU_DEP_3) | instskip(SKIP_4) | instid1(VALU_DEP_1)
	v_cmp_lt_f32_e64 s0, 0, v5
	s_wait_kmcnt 0x0
	s_cmp_lt_f32 s1, 0
	v_cndmask_b32_e64 v1, v1, v3, s0
	s_cselect_b32 s0, -1, 0
	v_mul_f32_e32 v2, 0x37800000, v1
	s_delay_alu instid0(VALU_DEP_1) | instskip(SKIP_1) | instid1(VALU_DEP_2)
	v_cndmask_b32_e32 v1, v1, v2, vcc_lo
	v_cmp_class_f32_e64 vcc_lo, v0, 0x260
	v_dual_cndmask_b32 v0, v1, v0 :: v_dual_mov_b32 v1, 0
	s_delay_alu instid0(VALU_DEP_1)
	v_cndmask_b32_e64 v0, v0, -v0, s0
	global_store_b32 v1, v0, s[2:3]
.LBB22_17:
	s_endpgm
	.section	.rodata,"a",@progbits
	.p2align	6, 0x0
	.amdhsa_kernel _ZN9rocsolver6v33100L32stedc_mergeValues_Rescale_kernelIfEEviiPT_lS3_lS3_S3_PiS2_S2_S2_
		.amdhsa_group_segment_fixed_size 2048
		.amdhsa_private_segment_fixed_size 0
		.amdhsa_kernarg_size 336
		.amdhsa_user_sgpr_count 2
		.amdhsa_user_sgpr_dispatch_ptr 0
		.amdhsa_user_sgpr_queue_ptr 0
		.amdhsa_user_sgpr_kernarg_segment_ptr 1
		.amdhsa_user_sgpr_dispatch_id 0
		.amdhsa_user_sgpr_kernarg_preload_length 0
		.amdhsa_user_sgpr_kernarg_preload_offset 0
		.amdhsa_user_sgpr_private_segment_size 0
		.amdhsa_wavefront_size32 1
		.amdhsa_uses_dynamic_stack 0
		.amdhsa_enable_private_segment 0
		.amdhsa_system_sgpr_workgroup_id_x 1
		.amdhsa_system_sgpr_workgroup_id_y 1
		.amdhsa_system_sgpr_workgroup_id_z 0
		.amdhsa_system_sgpr_workgroup_info 0
		.amdhsa_system_vgpr_workitem_id 0
		.amdhsa_next_free_vgpr 11
		.amdhsa_next_free_sgpr 26
		.amdhsa_named_barrier_count 0
		.amdhsa_reserve_vcc 1
		.amdhsa_float_round_mode_32 0
		.amdhsa_float_round_mode_16_64 0
		.amdhsa_float_denorm_mode_32 3
		.amdhsa_float_denorm_mode_16_64 3
		.amdhsa_fp16_overflow 0
		.amdhsa_memory_ordered 1
		.amdhsa_forward_progress 1
		.amdhsa_inst_pref_size 9
		.amdhsa_round_robin_scheduling 0
		.amdhsa_exception_fp_ieee_invalid_op 0
		.amdhsa_exception_fp_denorm_src 0
		.amdhsa_exception_fp_ieee_div_zero 0
		.amdhsa_exception_fp_ieee_overflow 0
		.amdhsa_exception_fp_ieee_underflow 0
		.amdhsa_exception_fp_ieee_inexact 0
		.amdhsa_exception_int_div_zero 0
	.end_amdhsa_kernel
	.section	.text._ZN9rocsolver6v33100L32stedc_mergeValues_Rescale_kernelIfEEviiPT_lS3_lS3_S3_PiS2_S2_S2_,"axG",@progbits,_ZN9rocsolver6v33100L32stedc_mergeValues_Rescale_kernelIfEEviiPT_lS3_lS3_S3_PiS2_S2_S2_,comdat
.Lfunc_end22:
	.size	_ZN9rocsolver6v33100L32stedc_mergeValues_Rescale_kernelIfEEviiPT_lS3_lS3_S3_PiS2_S2_S2_, .Lfunc_end22-_ZN9rocsolver6v33100L32stedc_mergeValues_Rescale_kernelIfEEviiPT_lS3_lS3_S3_PiS2_S2_S2_
                                        ; -- End function
	.set _ZN9rocsolver6v33100L32stedc_mergeValues_Rescale_kernelIfEEviiPT_lS3_lS3_S3_PiS2_S2_S2_.num_vgpr, 11
	.set _ZN9rocsolver6v33100L32stedc_mergeValues_Rescale_kernelIfEEviiPT_lS3_lS3_S3_PiS2_S2_S2_.num_agpr, 0
	.set _ZN9rocsolver6v33100L32stedc_mergeValues_Rescale_kernelIfEEviiPT_lS3_lS3_S3_PiS2_S2_S2_.numbered_sgpr, 26
	.set _ZN9rocsolver6v33100L32stedc_mergeValues_Rescale_kernelIfEEviiPT_lS3_lS3_S3_PiS2_S2_S2_.num_named_barrier, 0
	.set _ZN9rocsolver6v33100L32stedc_mergeValues_Rescale_kernelIfEEviiPT_lS3_lS3_S3_PiS2_S2_S2_.private_seg_size, 0
	.set _ZN9rocsolver6v33100L32stedc_mergeValues_Rescale_kernelIfEEviiPT_lS3_lS3_S3_PiS2_S2_S2_.uses_vcc, 1
	.set _ZN9rocsolver6v33100L32stedc_mergeValues_Rescale_kernelIfEEviiPT_lS3_lS3_S3_PiS2_S2_S2_.uses_flat_scratch, 0
	.set _ZN9rocsolver6v33100L32stedc_mergeValues_Rescale_kernelIfEEviiPT_lS3_lS3_S3_PiS2_S2_S2_.has_dyn_sized_stack, 0
	.set _ZN9rocsolver6v33100L32stedc_mergeValues_Rescale_kernelIfEEviiPT_lS3_lS3_S3_PiS2_S2_S2_.has_recursion, 0
	.set _ZN9rocsolver6v33100L32stedc_mergeValues_Rescale_kernelIfEEviiPT_lS3_lS3_S3_PiS2_S2_S2_.has_indirect_call, 0
	.section	.AMDGPU.csdata,"",@progbits
; Kernel info:
; codeLenInByte = 1044
; TotalNumSgprs: 28
; NumVgprs: 11
; ScratchSize: 0
; MemoryBound: 0
; FloatMode: 240
; IeeeMode: 1
; LDSByteSize: 2048 bytes/workgroup (compile time only)
; SGPRBlocks: 0
; VGPRBlocks: 0
; NumSGPRsForWavesPerEU: 28
; NumVGPRsForWavesPerEU: 11
; NamedBarCnt: 0
; Occupancy: 16
; WaveLimiterHint : 1
; COMPUTE_PGM_RSRC2:SCRATCH_EN: 0
; COMPUTE_PGM_RSRC2:USER_SGPR: 2
; COMPUTE_PGM_RSRC2:TRAP_HANDLER: 0
; COMPUTE_PGM_RSRC2:TGID_X_EN: 1
; COMPUTE_PGM_RSRC2:TGID_Y_EN: 1
; COMPUTE_PGM_RSRC2:TGID_Z_EN: 0
; COMPUTE_PGM_RSRC2:TIDIG_COMP_CNT: 0
	.section	.text._ZN9rocsolver6v33100L25stedc_mergeVectors_kernelILb1EfEEviiPT0_iilS3_S3_Pi,"axG",@progbits,_ZN9rocsolver6v33100L25stedc_mergeVectors_kernelILb1EfEEviiPT0_iilS3_S3_Pi,comdat
	.globl	_ZN9rocsolver6v33100L25stedc_mergeVectors_kernelILb1EfEEviiPT0_iilS3_S3_Pi ; -- Begin function _ZN9rocsolver6v33100L25stedc_mergeVectors_kernelILb1EfEEviiPT0_iilS3_S3_Pi
	.p2align	8
	.type	_ZN9rocsolver6v33100L25stedc_mergeVectors_kernelILb1EfEEviiPT0_iilS3_S3_Pi,@function
_ZN9rocsolver6v33100L25stedc_mergeVectors_kernelILb1EfEEviiPT0_iilS3_S3_Pi: ; @_ZN9rocsolver6v33100L25stedc_mergeVectors_kernelILb1EfEEviiPT0_iilS3_S3_Pi
; %bb.0:
	s_clause 0x2
	s_load_b32 s4, s[0:1], 0x4
	s_load_b32 s6, s[0:1], 0x44
	s_load_b64 s[8:9], s[0:1], 0x30
	s_bfe_u32 s7, ttmp6, 0x4000c
	s_bfe_u32 s10, ttmp6, 0x40010
	s_add_co_i32 s7, s7, 1
	s_add_co_i32 s10, s10, 1
	s_and_b32 s5, ttmp6, 15
	s_bfe_u32 s11, ttmp6, 0x40004
	s_mul_i32 s7, ttmp9, s7
	s_mul_i32 s10, ttmp7, s10
	s_getreg_b32 s12, hwreg(HW_REG_IB_STS2, 6, 4)
	s_add_co_i32 s7, s5, s7
	s_add_co_i32 s11, s11, s10
	s_wait_xcnt 0x0
	s_load_b128 s[0:3], s[0:1], 0x20
	s_wait_kmcnt 0x0
	s_ashr_i32 s5, s4, 31
	s_and_b32 s14, s6, 0xffff
	s_cmp_eq_u32 s12, 0
	s_mul_i32 s10, s4, 5
	s_cselect_b32 s6, ttmp7, s11
	s_delay_alu instid0(SALU_CYCLE_1)
	s_mul_i32 s12, s4, s6
	s_cselect_b32 s6, ttmp9, s7
	s_mul_i32 s16, s12, 13
	s_ashr_i32 s11, s10, 31
	s_ashr_i32 s17, s16, 31
	s_lshl_b64 s[10:11], s[10:11], 2
	s_lshl_b64 s[16:17], s[16:17], 2
	s_ashr_i32 s7, s6, 31
	s_add_nc_u64 s[8:9], s[8:9], s[16:17]
	s_lshl_b64 s[16:17], s[4:5], 2
	s_add_nc_u64 s[8:9], s[8:9], s[10:11]
	s_lshl_b64 s[18:19], s[6:7], 2
	s_add_nc_u64 s[10:11], s[8:9], s[16:17]
	s_add_nc_u64 s[8:9], s[8:9], s[18:19]
	;; [unrolled: 1-line block ×5, first 2 shown]
	s_clause 0x1
	s_load_b32 s5, s[10:11], 0x0
	s_load_b32 s7, s[16:17], 0x0
	s_wait_kmcnt 0x0
	s_sub_co_i32 s13, s6, s5
	s_load_b32 s16, s[8:9], 0x0
	s_wait_xcnt 0x0
	s_mul_i32 s8, s12, s4
	s_mov_b32 s9, 0
	s_lshl_b32 s10, s8, 1
	s_mul_i32 s8, s4, s4
	s_ashr_i32 s11, s10, 31
	s_cmp_ge_i32 s13, s7
	s_cselect_b32 s15, -1, 0
	s_barrier_signal -1
	s_and_b32 vcc_lo, exec_lo, s15
	s_barrier_wait -1
	s_cbranch_vccnz .LBB23_10
; %bb.1:
	v_mov_b32_e32 v1, 0
	s_mov_b32 s17, exec_lo
	v_cmpx_gt_i32_e64 s7, v0
	s_cbranch_execz .LBB23_5
; %bb.2:
	v_mad_u32 v2, s4, s6, v0
	s_mul_i32 s18, s12, 10
	s_lshl_b32 s20, s4, 3
	s_ashr_i32 s19, s18, 31
	s_ashr_i32 s21, s20, 31
	s_lshl_b64 s[22:23], s[8:9], 2
	s_lshl_b64 s[18:19], s[18:19], 2
	;; [unrolled: 1-line block ×3, first 2 shown]
	v_mov_b32_e32 v8, v0
	s_add_nc_u64 s[18:19], s[18:19], s[20:21]
	s_add_nc_u64 s[20:21], s[2:3], s[22:23]
	v_dual_ashrrev_i32 v3, 31, v2 :: v_dual_add_nc_u32 v6, s5, v0
	s_add_nc_u64 s[0:1], s[0:1], s[18:19]
	s_mov_b32 s13, 0
	s_lshl_b32 s12, s14, 2
	s_delay_alu instid0(VALU_DEP_1) | instskip(SKIP_2) | instid1(VALU_DEP_1)
	v_lshlrev_b64_e32 v[2:3], 2, v[2:3]
	v_dual_ashrrev_i32 v7, 31, v6 :: v_dual_mov_b32 v1, 0
	s_mov_b32 s18, s13
	v_lshl_add_u64 v[6:7], v[6:7], 2, s[0:1]
	s_delay_alu instid0(VALU_DEP_3) | instskip(SKIP_1) | instid1(VALU_DEP_1)
	v_lshl_add_u64 v[4:5], s[10:11], 2, v[2:3]
	s_mov_b64 s[0:1], 0
	v_add_nc_u64_e32 v[2:3], s[20:21], v[4:5]
	v_add_nc_u64_e32 v[4:5], s[2:3], v[4:5]
.LBB23_3:                               ; =>This Inner Loop Header: Depth=1
	v_add_nc_u64_e32 v[10:11], s[0:1], v[6:7]
	s_delay_alu instid0(VALU_DEP_3)
	v_add_nc_u64_e32 v[12:13], s[0:1], v[2:3]
	global_load_b32 v9, v[10:11], off
	global_load_b32 v14, v[12:13], off
	v_add_nc_u32_e32 v8, s14, v8
	s_wait_loadcnt 0x0
	s_wait_xcnt 0x1
	v_div_scale_f32 v10, null, v14, v14, v9
	s_wait_xcnt 0x0
	v_div_scale_f32 v13, vcc_lo, v9, v14, v9
	s_delay_alu instid0(VALU_DEP_2) | instskip(SKIP_1) | instid1(TRANS32_DEP_1)
	v_rcp_f32_e32 v11, v10
	v_nop
	v_fma_f32 v12, -v10, v11, 1.0
	s_delay_alu instid0(VALU_DEP_1) | instskip(NEXT) | instid1(VALU_DEP_1)
	v_fmac_f32_e32 v11, v12, v11
	v_mul_f32_e32 v12, v13, v11
	s_delay_alu instid0(VALU_DEP_1) | instskip(NEXT) | instid1(VALU_DEP_1)
	v_fma_f32 v15, -v10, v12, v13
	v_fmac_f32_e32 v12, v15, v11
	s_delay_alu instid0(VALU_DEP_1) | instskip(NEXT) | instid1(VALU_DEP_1)
	v_fma_f32 v10, -v10, v12, v13
	v_div_fmas_f32 v10, v10, v11, v12
	v_cmp_le_i32_e32 vcc_lo, s7, v8
	s_delay_alu instid0(VALU_DEP_2) | instskip(SKIP_3) | instid1(VALU_DEP_2)
	v_div_fixup_f32 v9, v10, v14, v9
	v_add_nc_u64_e32 v[10:11], s[0:1], v[4:5]
	s_or_b32 s18, vcc_lo, s18
	s_add_nc_u64 s[0:1], s[0:1], s[12:13]
	v_fmac_f32_e32 v1, v9, v9
	global_store_b32 v[10:11], v9, off
	s_wait_xcnt 0x0
	s_and_not1_b32 exec_lo, exec_lo, s18
	s_cbranch_execnz .LBB23_3
; %bb.4:
	s_or_b32 exec_lo, exec_lo, s18
.LBB23_5:
	s_delay_alu instid0(SALU_CYCLE_1)
	s_or_b32 exec_lo, exec_lo, s17
	v_lshlrev_b32_e32 v2, 2, v0
	s_cmp_lt_u32 s14, 2
	ds_store_b32 v2, v1
	s_cbranch_scc1 .LBB23_11
; %bb.6:
	s_mov_b32 s0, s14
	s_branch .LBB23_8
.LBB23_7:                               ;   in Loop: Header=BB23_8 Depth=1
	s_or_b32 exec_lo, exec_lo, s12
	s_cmp_lt_u32 s0, 4
	s_mov_b32 s0, s1
	s_cbranch_scc1 .LBB23_11
.LBB23_8:                               ; =>This Inner Loop Header: Depth=1
	s_lshr_b32 s1, s0, 1
	s_mov_b32 s12, exec_lo
	s_wait_storecnt_dscnt 0x0
	s_barrier_signal -1
	s_barrier_wait -1
	v_cmpx_gt_u32_e64 s1, v0
	s_cbranch_execz .LBB23_7
; %bb.9:                                ;   in Loop: Header=BB23_8 Depth=1
	v_lshl_add_u32 v3, s1, 2, v2
	ds_load_b32 v3, v3
	s_wait_dscnt 0x0
	v_add_f32_e32 v1, v1, v3
	ds_store_b32 v2, v1
	s_branch .LBB23_7
.LBB23_10:
                                        ; implicit-def: $vgpr1
	s_wait_kmcnt 0x0
	s_add_co_i32 s16, s16, s5
	s_mov_b32 s0, exec_lo
	v_cmpx_gt_i32_e64 s16, v0
	s_cbranch_execnz .LBB23_12
	s_branch .LBB23_18
.LBB23_11:
	v_mov_b32_e32 v1, 0
	s_wait_storecnt_dscnt 0x0
	s_barrier_signal -1
	s_barrier_wait -1
	ds_load_b32 v1, v1
	s_wait_dscnt 0x0
	v_readfirstlane_b32 s0, v1
	v_cmp_gt_f32_e32 vcc_lo, 0xf800000, v1
	s_mul_f32 s1, s0, 0x4f800000
	s_cmp_lt_f32 s0, 0xf800000
	s_delay_alu instid0(SALU_CYCLE_2) | instskip(NEXT) | instid1(SALU_CYCLE_1)
	s_cselect_b32 s0, s1, s0
	v_s_sqrt_f32 s1, s0
	s_mov_b32 s13, s0
	s_mov_b32 s18, s0
	s_delay_alu instid0(TRANS32_DEP_1) | instskip(NEXT) | instid1(SALU_CYCLE_1)
	s_add_co_i32 s12, s1, -1
	s_xor_b32 s17, s12, 0x80000000
	s_delay_alu instid0(SALU_CYCLE_1) | instskip(NEXT) | instid1(SALU_CYCLE_3)
	s_fmac_f32 s13, s17, s1
	s_cmp_le_f32 s13, 0
	s_cselect_b32 s12, s12, s1
	s_add_co_i32 s13, s1, 1
	s_delay_alu instid0(SALU_CYCLE_1) | instskip(NEXT) | instid1(SALU_CYCLE_1)
	s_xor_b32 s17, s13, 0x80000000
	s_fmac_f32 s18, s17, s1
	s_delay_alu instid0(SALU_CYCLE_3) | instskip(SKIP_1) | instid1(SALU_CYCLE_1)
	s_cmp_gt_f32 s18, 0
	s_cselect_b32 s1, s13, s12
	s_mul_f32 s12, s1, 0x37800000
	s_delay_alu instid0(SALU_CYCLE_3) | instskip(NEXT) | instid1(VALU_DEP_1)
	v_mov_b32_e32 v2, s12
	v_cndmask_b32_e32 v1, s1, v2, vcc_lo
	v_cmp_class_f32_e64 s1, s0, 0x260
	s_delay_alu instid0(VALU_DEP_1)
	v_cndmask_b32_e64 v1, v1, s0, s1
	s_wait_kmcnt 0x0
	s_add_co_i32 s16, s16, s5
	s_mov_b32 s0, exec_lo
	v_cmpx_gt_i32_e64 s16, v0
	s_cbranch_execz .LBB23_18
.LBB23_12:
	s_lshl_b64 s[0:1], s[10:11], 2
	s_lshl_b64 s[8:9], s[8:9], 2
	s_add_nc_u64 s[0:1], s[2:3], s[0:1]
	s_mul_i32 s4, s4, s6
	s_add_nc_u64 s[2:3], s[0:1], s[8:9]
	s_mov_b32 s6, 0
	s_sub_co_i32 s8, 0, s5
	s_sub_co_i32 s9, s4, s5
	s_xor_b32 s10, s15, -1
	s_branch .LBB23_15
.LBB23_13:                              ;   in Loop: Header=BB23_15 Depth=1
	s_or_b32 exec_lo, exec_lo, s12
.LBB23_14:                              ;   in Loop: Header=BB23_15 Depth=1
	s_delay_alu instid0(SALU_CYCLE_1)
	s_or_b32 exec_lo, exec_lo, s11
	v_dual_add_nc_u32 v3, s4, v0 :: v_dual_add_nc_u32 v0, s14, v0
	global_store_b32 v3, v2, s[2:3] scale_offset
	v_cmp_le_i32_e32 vcc_lo, s16, v0
	s_or_b32 s6, vcc_lo, s6
	s_wait_xcnt 0x0
	s_and_not1_b32 exec_lo, exec_lo, s6
	s_cbranch_execz .LBB23_18
.LBB23_15:                              ; =>This Inner Loop Header: Depth=1
	v_cmp_le_i32_e32 vcc_lo, s5, v0
	v_mov_b32_e32 v2, 0
	s_and_b32 s12, s10, vcc_lo
	s_delay_alu instid0(SALU_CYCLE_1)
	s_and_saveexec_b32 s11, s12
	s_cbranch_execz .LBB23_14
; %bb.16:                               ;   in Loop: Header=BB23_15 Depth=1
	v_add_nc_u32_e32 v2, s8, v0
	s_delay_alu instid0(VALU_DEP_1)
	v_cmp_gt_i32_e32 vcc_lo, s7, v2
	v_mov_b32_e32 v2, 0
	s_and_saveexec_b32 s12, vcc_lo
	s_cbranch_execz .LBB23_13
; %bb.17:                               ;   in Loop: Header=BB23_15 Depth=1
	v_add_nc_u32_e32 v2, s9, v0
	global_load_b32 v2, v2, s[0:1] scale_offset
	s_wait_loadcnt 0x0
	v_div_scale_f32 v3, null, v1, v1, v2
	s_delay_alu instid0(VALU_DEP_1) | instskip(SKIP_1) | instid1(TRANS32_DEP_1)
	v_rcp_f32_e32 v4, v3
	v_nop
	v_fma_f32 v5, -v3, v4, 1.0
	s_delay_alu instid0(VALU_DEP_1) | instskip(SKIP_1) | instid1(VALU_DEP_1)
	v_fmac_f32_e32 v4, v5, v4
	v_div_scale_f32 v5, vcc_lo, v2, v1, v2
	v_mul_f32_e32 v6, v5, v4
	s_delay_alu instid0(VALU_DEP_1) | instskip(NEXT) | instid1(VALU_DEP_1)
	v_fma_f32 v7, -v3, v6, v5
	v_fmac_f32_e32 v6, v7, v4
	s_delay_alu instid0(VALU_DEP_1) | instskip(NEXT) | instid1(VALU_DEP_1)
	v_fma_f32 v3, -v3, v6, v5
	v_div_fmas_f32 v3, v3, v4, v6
	s_wait_xcnt 0x0
	s_delay_alu instid0(VALU_DEP_1)
	v_div_fixup_f32 v2, v3, v1, v2
	s_branch .LBB23_13
.LBB23_18:
	s_endpgm
	.section	.rodata,"a",@progbits
	.p2align	6, 0x0
	.amdhsa_kernel _ZN9rocsolver6v33100L25stedc_mergeVectors_kernelILb1EfEEviiPT0_iilS3_S3_Pi
		.amdhsa_group_segment_fixed_size 2048
		.amdhsa_private_segment_fixed_size 0
		.amdhsa_kernarg_size 312
		.amdhsa_user_sgpr_count 2
		.amdhsa_user_sgpr_dispatch_ptr 0
		.amdhsa_user_sgpr_queue_ptr 0
		.amdhsa_user_sgpr_kernarg_segment_ptr 1
		.amdhsa_user_sgpr_dispatch_id 0
		.amdhsa_user_sgpr_kernarg_preload_length 0
		.amdhsa_user_sgpr_kernarg_preload_offset 0
		.amdhsa_user_sgpr_private_segment_size 0
		.amdhsa_wavefront_size32 1
		.amdhsa_uses_dynamic_stack 0
		.amdhsa_enable_private_segment 0
		.amdhsa_system_sgpr_workgroup_id_x 1
		.amdhsa_system_sgpr_workgroup_id_y 1
		.amdhsa_system_sgpr_workgroup_id_z 0
		.amdhsa_system_sgpr_workgroup_info 0
		.amdhsa_system_vgpr_workitem_id 0
		.amdhsa_next_free_vgpr 16
		.amdhsa_next_free_sgpr 24
		.amdhsa_named_barrier_count 0
		.amdhsa_reserve_vcc 1
		.amdhsa_float_round_mode_32 0
		.amdhsa_float_round_mode_16_64 0
		.amdhsa_float_denorm_mode_32 3
		.amdhsa_float_denorm_mode_16_64 3
		.amdhsa_fp16_overflow 0
		.amdhsa_memory_ordered 1
		.amdhsa_forward_progress 1
		.amdhsa_inst_pref_size 10
		.amdhsa_round_robin_scheduling 0
		.amdhsa_exception_fp_ieee_invalid_op 0
		.amdhsa_exception_fp_denorm_src 0
		.amdhsa_exception_fp_ieee_div_zero 0
		.amdhsa_exception_fp_ieee_overflow 0
		.amdhsa_exception_fp_ieee_underflow 0
		.amdhsa_exception_fp_ieee_inexact 0
		.amdhsa_exception_int_div_zero 0
	.end_amdhsa_kernel
	.section	.text._ZN9rocsolver6v33100L25stedc_mergeVectors_kernelILb1EfEEviiPT0_iilS3_S3_Pi,"axG",@progbits,_ZN9rocsolver6v33100L25stedc_mergeVectors_kernelILb1EfEEviiPT0_iilS3_S3_Pi,comdat
.Lfunc_end23:
	.size	_ZN9rocsolver6v33100L25stedc_mergeVectors_kernelILb1EfEEviiPT0_iilS3_S3_Pi, .Lfunc_end23-_ZN9rocsolver6v33100L25stedc_mergeVectors_kernelILb1EfEEviiPT0_iilS3_S3_Pi
                                        ; -- End function
	.set _ZN9rocsolver6v33100L25stedc_mergeVectors_kernelILb1EfEEviiPT0_iilS3_S3_Pi.num_vgpr, 16
	.set _ZN9rocsolver6v33100L25stedc_mergeVectors_kernelILb1EfEEviiPT0_iilS3_S3_Pi.num_agpr, 0
	.set _ZN9rocsolver6v33100L25stedc_mergeVectors_kernelILb1EfEEviiPT0_iilS3_S3_Pi.numbered_sgpr, 24
	.set _ZN9rocsolver6v33100L25stedc_mergeVectors_kernelILb1EfEEviiPT0_iilS3_S3_Pi.num_named_barrier, 0
	.set _ZN9rocsolver6v33100L25stedc_mergeVectors_kernelILb1EfEEviiPT0_iilS3_S3_Pi.private_seg_size, 0
	.set _ZN9rocsolver6v33100L25stedc_mergeVectors_kernelILb1EfEEviiPT0_iilS3_S3_Pi.uses_vcc, 1
	.set _ZN9rocsolver6v33100L25stedc_mergeVectors_kernelILb1EfEEviiPT0_iilS3_S3_Pi.uses_flat_scratch, 0
	.set _ZN9rocsolver6v33100L25stedc_mergeVectors_kernelILb1EfEEviiPT0_iilS3_S3_Pi.has_dyn_sized_stack, 0
	.set _ZN9rocsolver6v33100L25stedc_mergeVectors_kernelILb1EfEEviiPT0_iilS3_S3_Pi.has_recursion, 0
	.set _ZN9rocsolver6v33100L25stedc_mergeVectors_kernelILb1EfEEviiPT0_iilS3_S3_Pi.has_indirect_call, 0
	.section	.AMDGPU.csdata,"",@progbits
; Kernel info:
; codeLenInByte = 1256
; TotalNumSgprs: 26
; NumVgprs: 16
; ScratchSize: 0
; MemoryBound: 0
; FloatMode: 240
; IeeeMode: 1
; LDSByteSize: 2048 bytes/workgroup (compile time only)
; SGPRBlocks: 0
; VGPRBlocks: 0
; NumSGPRsForWavesPerEU: 26
; NumVGPRsForWavesPerEU: 16
; NamedBarCnt: 0
; Occupancy: 16
; WaveLimiterHint : 1
; COMPUTE_PGM_RSRC2:SCRATCH_EN: 0
; COMPUTE_PGM_RSRC2:USER_SGPR: 2
; COMPUTE_PGM_RSRC2:TRAP_HANDLER: 0
; COMPUTE_PGM_RSRC2:TGID_X_EN: 1
; COMPUTE_PGM_RSRC2:TGID_Y_EN: 1
; COMPUTE_PGM_RSRC2:TGID_Z_EN: 0
; COMPUTE_PGM_RSRC2:TIDIG_COMP_CNT: 0
	.section	.text._ZN9rocsolver6v33100L24stedc_mergeUpdate_kernelIfEEviiPT_lS3_iilS3_S3_Pi,"axG",@progbits,_ZN9rocsolver6v33100L24stedc_mergeUpdate_kernelIfEEviiPT_lS3_iilS3_S3_Pi,comdat
	.globl	_ZN9rocsolver6v33100L24stedc_mergeUpdate_kernelIfEEviiPT_lS3_iilS3_S3_Pi ; -- Begin function _ZN9rocsolver6v33100L24stedc_mergeUpdate_kernelIfEEviiPT_lS3_iilS3_S3_Pi
	.p2align	8
	.type	_ZN9rocsolver6v33100L24stedc_mergeUpdate_kernelIfEEviiPT_lS3_iilS3_S3_Pi,@function
_ZN9rocsolver6v33100L24stedc_mergeUpdate_kernelIfEEviiPT_lS3_iilS3_S3_Pi: ; @_ZN9rocsolver6v33100L24stedc_mergeUpdate_kernelIfEEviiPT_lS3_iilS3_S3_Pi
; %bb.0:
	s_clause 0x1
	s_load_b32 s2, s[0:1], 0x4
	s_load_b256 s[4:11], s[0:1], 0x28
	s_bfe_u32 s12, ttmp6, 0x4000c
	s_bfe_u32 s13, ttmp6, 0x40010
	s_add_co_i32 s12, s12, 1
	s_add_co_i32 s13, s13, 1
	s_and_b32 s3, ttmp6, 15
	s_bfe_u32 s14, ttmp6, 0x40004
	s_mul_i32 s12, ttmp9, s12
	s_mul_i32 s13, ttmp7, s13
	s_getreg_b32 s15, hwreg(HW_REG_IB_STS2, 6, 4)
	s_add_co_i32 s3, s3, s12
	s_add_co_i32 s14, s14, s13
	s_cmp_eq_u32 s15, 0
	s_cselect_b32 s18, ttmp7, s14
	s_cselect_b32 s16, ttmp9, s3
	s_delay_alu instid0(SALU_CYCLE_1)
	s_ashr_i32 s17, s16, 31
	s_wait_kmcnt 0x0
	s_mul_i32 s24, s2, s18
	s_mul_i32 s12, s2, 7
	;; [unrolled: 1-line block ×3, first 2 shown]
	s_ashr_i32 s3, s2, 31
	s_ashr_i32 s15, s14, 31
	;; [unrolled: 1-line block ×3, first 2 shown]
	s_lshl_b64 s[14:15], s[14:15], 2
	s_lshl_b64 s[20:21], s[2:3], 3
	;; [unrolled: 1-line block ×3, first 2 shown]
	s_add_nc_u64 s[10:11], s[10:11], s[14:15]
	s_sub_nc_u64 s[14:15], 0, s[20:21]
	s_add_nc_u64 s[12:13], s[10:11], s[12:13]
	s_lshl_b64 s[22:23], s[2:3], 2
	s_add_nc_u64 s[10:11], s[12:13], s[14:15]
	s_lshl_b64 s[20:21], s[16:17], 2
	s_add_nc_u64 s[14:15], s[10:11], s[22:23]
	s_add_nc_u64 s[12:13], s[12:13], s[20:21]
	;; [unrolled: 1-line block ×3, first 2 shown]
	s_clause 0x1
	s_load_b32 s3, s[14:15], 0x0
	s_load_b32 s17, s[12:13], 0x0
	s_wait_kmcnt 0x0
	s_sub_co_i32 s12, s16, s3
	s_delay_alu instid0(SALU_CYCLE_1)
	s_cmp_ge_i32 s12, s17
	s_cbranch_scc1 .LBB24_6
; %bb.1:
	s_add_nc_u64 s[26:27], s[10:11], s[20:21]
	s_clause 0x1
	s_load_b128 s[12:15], s[0:1], 0x8
	s_load_b64 s[10:11], s[0:1], 0x18
	s_load_b32 s17, s[26:27], 0x0
	s_ashr_i32 s19, s18, 31
	s_mov_b32 s25, exec_lo
	v_cmpx_eq_u32_e32 0, v0
	s_cbranch_execz .LBB24_3
; %bb.2:
	s_wait_xcnt 0x0
	s_mul_i32 s26, s24, 10
	s_delay_alu instid0(SALU_CYCLE_1) | instskip(NEXT) | instid1(SALU_CYCLE_1)
	s_ashr_i32 s27, s26, 31
	s_lshl_b64 s[26:27], s[26:27], 2
	s_delay_alu instid0(SALU_CYCLE_1) | instskip(NEXT) | instid1(SALU_CYCLE_1)
	s_add_nc_u64 s[6:7], s[6:7], s[26:27]
	s_add_nc_u64 s[6:7], s[6:7], s[22:23]
	s_delay_alu instid0(SALU_CYCLE_1)
	s_add_nc_u64 s[6:7], s[6:7], s[20:21]
	s_load_b32 s22, s[6:7], 0x0
	s_wait_kmcnt 0x0
	s_mul_u64 s[6:7], s[14:15], s[18:19]
	v_mov_b32_e32 v1, 0
	s_lshl_b64 s[6:7], s[6:7], 2
	s_delay_alu instid0(SALU_CYCLE_1) | instskip(NEXT) | instid1(SALU_CYCLE_1)
	s_add_nc_u64 s[6:7], s[12:13], s[6:7]
	s_add_nc_u64 s[6:7], s[6:7], s[20:21]
	v_mov_b32_e32 v2, s22
	global_store_b32 v1, v2, s[6:7]
.LBB24_3:
	s_wait_xcnt 0x0
	s_or_b32 exec_lo, exec_lo, s25
	v_add_nc_u32_e32 v0, s3, v0
	s_wait_kmcnt 0x0
	s_add_co_i32 s6, s17, s3
	s_mov_b32 s3, exec_lo
	s_delay_alu instid0(VALU_DEP_1)
	v_cmpx_gt_i32_e64 s6, v0
	s_cbranch_execz .LBB24_6
; %bb.4:
	s_clause 0x1
	s_load_b64 s[12:13], s[0:1], 0x20
	s_load_b32 s7, s[0:1], 0x54
	s_mul_i32 s24, s24, s2
	s_wait_xcnt 0x0
	s_mul_u64 s[0:1], s[4:5], s[18:19]
	s_lshl_b32 s14, s24, 1
	s_mul_i32 s4, s2, s16
	s_ashr_i32 s15, s14, 31
	s_lshl_b64 s[0:1], s[0:1], 2
	s_lshl_b64 s[2:3], s[14:15], 2
	s_add_nc_u64 s[10:11], s[10:11], s[0:1]
	s_add_nc_u64 s[0:1], s[8:9], s[2:3]
	s_mov_b32 s8, 0
	s_wait_kmcnt 0x0
	s_ashr_i32 s3, s12, 31
	s_mov_b32 s2, s12
	s_mul_i32 s5, s13, s16
	s_lshl_b64 s[2:3], s[2:3], 2
	s_and_b32 s7, s7, 0xffff
	s_add_nc_u64 s[2:3], s[10:11], s[2:3]
.LBB24_5:                               ; =>This Inner Loop Header: Depth=1
	v_dual_add_nc_u32 v1, s4, v0 :: v_dual_add_nc_u32 v2, s5, v0
	v_add_nc_u32_e32 v0, s7, v0
	global_load_b32 v1, v1, s[0:1] scale_offset
	v_cmp_le_i32_e32 vcc_lo, s6, v0
	s_or_b32 s8, vcc_lo, s8
	s_wait_loadcnt 0x0
	global_store_b32 v2, v1, s[2:3] scale_offset
	s_wait_xcnt 0x0
	s_and_not1_b32 exec_lo, exec_lo, s8
	s_cbranch_execnz .LBB24_5
.LBB24_6:
	s_endpgm
	.section	.rodata,"a",@progbits
	.p2align	6, 0x0
	.amdhsa_kernel _ZN9rocsolver6v33100L24stedc_mergeUpdate_kernelIfEEviiPT_lS3_iilS3_S3_Pi
		.amdhsa_group_segment_fixed_size 0
		.amdhsa_private_segment_fixed_size 0
		.amdhsa_kernarg_size 328
		.amdhsa_user_sgpr_count 2
		.amdhsa_user_sgpr_dispatch_ptr 0
		.amdhsa_user_sgpr_queue_ptr 0
		.amdhsa_user_sgpr_kernarg_segment_ptr 1
		.amdhsa_user_sgpr_dispatch_id 0
		.amdhsa_user_sgpr_kernarg_preload_length 0
		.amdhsa_user_sgpr_kernarg_preload_offset 0
		.amdhsa_user_sgpr_private_segment_size 0
		.amdhsa_wavefront_size32 1
		.amdhsa_uses_dynamic_stack 0
		.amdhsa_enable_private_segment 0
		.amdhsa_system_sgpr_workgroup_id_x 1
		.amdhsa_system_sgpr_workgroup_id_y 1
		.amdhsa_system_sgpr_workgroup_id_z 0
		.amdhsa_system_sgpr_workgroup_info 0
		.amdhsa_system_vgpr_workitem_id 0
		.amdhsa_next_free_vgpr 3
		.amdhsa_next_free_sgpr 28
		.amdhsa_named_barrier_count 0
		.amdhsa_reserve_vcc 1
		.amdhsa_float_round_mode_32 0
		.amdhsa_float_round_mode_16_64 0
		.amdhsa_float_denorm_mode_32 3
		.amdhsa_float_denorm_mode_16_64 3
		.amdhsa_fp16_overflow 0
		.amdhsa_memory_ordered 1
		.amdhsa_forward_progress 1
		.amdhsa_inst_pref_size 5
		.amdhsa_round_robin_scheduling 0
		.amdhsa_exception_fp_ieee_invalid_op 0
		.amdhsa_exception_fp_denorm_src 0
		.amdhsa_exception_fp_ieee_div_zero 0
		.amdhsa_exception_fp_ieee_overflow 0
		.amdhsa_exception_fp_ieee_underflow 0
		.amdhsa_exception_fp_ieee_inexact 0
		.amdhsa_exception_int_div_zero 0
	.end_amdhsa_kernel
	.section	.text._ZN9rocsolver6v33100L24stedc_mergeUpdate_kernelIfEEviiPT_lS3_iilS3_S3_Pi,"axG",@progbits,_ZN9rocsolver6v33100L24stedc_mergeUpdate_kernelIfEEviiPT_lS3_iilS3_S3_Pi,comdat
.Lfunc_end24:
	.size	_ZN9rocsolver6v33100L24stedc_mergeUpdate_kernelIfEEviiPT_lS3_iilS3_S3_Pi, .Lfunc_end24-_ZN9rocsolver6v33100L24stedc_mergeUpdate_kernelIfEEviiPT_lS3_iilS3_S3_Pi
                                        ; -- End function
	.set _ZN9rocsolver6v33100L24stedc_mergeUpdate_kernelIfEEviiPT_lS3_iilS3_S3_Pi.num_vgpr, 3
	.set _ZN9rocsolver6v33100L24stedc_mergeUpdate_kernelIfEEviiPT_lS3_iilS3_S3_Pi.num_agpr, 0
	.set _ZN9rocsolver6v33100L24stedc_mergeUpdate_kernelIfEEviiPT_lS3_iilS3_S3_Pi.numbered_sgpr, 28
	.set _ZN9rocsolver6v33100L24stedc_mergeUpdate_kernelIfEEviiPT_lS3_iilS3_S3_Pi.num_named_barrier, 0
	.set _ZN9rocsolver6v33100L24stedc_mergeUpdate_kernelIfEEviiPT_lS3_iilS3_S3_Pi.private_seg_size, 0
	.set _ZN9rocsolver6v33100L24stedc_mergeUpdate_kernelIfEEviiPT_lS3_iilS3_S3_Pi.uses_vcc, 1
	.set _ZN9rocsolver6v33100L24stedc_mergeUpdate_kernelIfEEviiPT_lS3_iilS3_S3_Pi.uses_flat_scratch, 0
	.set _ZN9rocsolver6v33100L24stedc_mergeUpdate_kernelIfEEviiPT_lS3_iilS3_S3_Pi.has_dyn_sized_stack, 0
	.set _ZN9rocsolver6v33100L24stedc_mergeUpdate_kernelIfEEviiPT_lS3_iilS3_S3_Pi.has_recursion, 0
	.set _ZN9rocsolver6v33100L24stedc_mergeUpdate_kernelIfEEviiPT_lS3_iilS3_S3_Pi.has_indirect_call, 0
	.section	.AMDGPU.csdata,"",@progbits
; Kernel info:
; codeLenInByte = 556
; TotalNumSgprs: 30
; NumVgprs: 3
; ScratchSize: 0
; MemoryBound: 0
; FloatMode: 240
; IeeeMode: 1
; LDSByteSize: 0 bytes/workgroup (compile time only)
; SGPRBlocks: 0
; VGPRBlocks: 0
; NumSGPRsForWavesPerEU: 30
; NumVGPRsForWavesPerEU: 3
; NamedBarCnt: 0
; Occupancy: 16
; WaveLimiterHint : 0
; COMPUTE_PGM_RSRC2:SCRATCH_EN: 0
; COMPUTE_PGM_RSRC2:USER_SGPR: 2
; COMPUTE_PGM_RSRC2:TRAP_HANDLER: 0
; COMPUTE_PGM_RSRC2:TGID_X_EN: 1
; COMPUTE_PGM_RSRC2:TGID_Y_EN: 1
; COMPUTE_PGM_RSRC2:TGID_Z_EN: 0
; COMPUTE_PGM_RSRC2:TIDIG_COMP_CNT: 0
	.section	.text._ZN9rocsolver6v33100L8copy_matIfPfNS0_7no_maskEEEvNS0_17copymat_directionEiiT0_iilPT_T1_13rocblas_fill_17rocblas_diagonal_,"axG",@progbits,_ZN9rocsolver6v33100L8copy_matIfPfNS0_7no_maskEEEvNS0_17copymat_directionEiiT0_iilPT_T1_13rocblas_fill_17rocblas_diagonal_,comdat
	.globl	_ZN9rocsolver6v33100L8copy_matIfPfNS0_7no_maskEEEvNS0_17copymat_directionEiiT0_iilPT_T1_13rocblas_fill_17rocblas_diagonal_ ; -- Begin function _ZN9rocsolver6v33100L8copy_matIfPfNS0_7no_maskEEEvNS0_17copymat_directionEiiT0_iilPT_T1_13rocblas_fill_17rocblas_diagonal_
	.p2align	8
	.type	_ZN9rocsolver6v33100L8copy_matIfPfNS0_7no_maskEEEvNS0_17copymat_directionEiiT0_iilPT_T1_13rocblas_fill_17rocblas_diagonal_,@function
_ZN9rocsolver6v33100L8copy_matIfPfNS0_7no_maskEEEvNS0_17copymat_directionEiiT0_iilPT_T1_13rocblas_fill_17rocblas_diagonal_: ; @_ZN9rocsolver6v33100L8copy_matIfPfNS0_7no_maskEEEvNS0_17copymat_directionEiiT0_iilPT_T1_13rocblas_fill_17rocblas_diagonal_
; %bb.0:
	s_clause 0x1
	s_load_b32 s2, s[0:1], 0x4c
	s_load_b96 s[12:14], s[0:1], 0x0
	s_bfe_u32 s5, ttmp6, 0x4000c
	s_bfe_u32 s7, ttmp6, 0x40010
	s_and_b32 s6, ttmp7, 0xffff
	s_add_co_i32 s5, s5, 1
	s_add_co_i32 s7, s7, 1
	s_and_b32 s4, ttmp6, 15
	s_bfe_u32 s8, ttmp6, 0x40004
	s_mul_i32 s5, ttmp9, s5
	s_mul_i32 s7, s6, s7
	s_getreg_b32 s3, hwreg(HW_REG_IB_STS2, 6, 4)
	v_bfe_u32 v1, v0, 10, 10
	v_and_b32_e32 v0, 0x3ff, v0
	s_add_co_i32 s4, s4, s5
	s_add_co_i32 s8, s8, s7
	s_wait_kmcnt 0x0
	s_lshr_b32 s5, s2, 16
	s_and_b32 s2, s2, 0xffff
	s_cmp_eq_u32 s3, 0
	s_cselect_b32 s4, ttmp9, s4
	s_cselect_b32 s6, s6, s8
	v_mad_u32 v0, s4, s2, v0
	v_mad_u32 v1, s6, s5, v1
	s_delay_alu instid0(VALU_DEP_2) | instskip(NEXT) | instid1(VALU_DEP_2)
	v_cmp_gt_u32_e32 vcc_lo, s13, v0
	v_cmp_gt_u32_e64 s2, s14, v1
	s_and_b32 s2, s2, vcc_lo
	s_delay_alu instid0(SALU_CYCLE_1)
	s_and_saveexec_b32 s4, s2
	s_cbranch_execz .LBB25_14
; %bb.1:
	s_load_b64 s[4:5], s[0:1], 0x34
	s_wait_kmcnt 0x0
	s_cmp_lt_i32 s4, 0x7a
	s_cbranch_scc1 .LBB25_4
; %bb.2:
	s_cmp_gt_i32 s4, 0x7a
	s_cbranch_scc0 .LBB25_5
; %bb.3:
	s_cmp_lg_u32 s4, 0x7b
	s_mov_b32 s6, -1
	s_cselect_b32 s7, -1, 0
	s_cbranch_execz .LBB25_6
	s_branch .LBB25_7
.LBB25_4:
	s_mov_b32 s7, 0
	s_mov_b32 s6, 0
	s_cbranch_execnz .LBB25_8
	s_branch .LBB25_10
.LBB25_5:
	s_mov_b32 s6, 0
	s_mov_b32 s7, 0
.LBB25_6:
	v_cmp_gt_u32_e32 vcc_lo, v0, v1
	v_cmp_le_u32_e64 s2, v0, v1
	s_and_not1_b32 s6, s6, exec_lo
	s_and_not1_b32 s7, s7, exec_lo
	s_and_b32 s8, vcc_lo, exec_lo
	s_and_b32 s2, s2, exec_lo
	s_or_b32 s6, s6, s8
	s_or_b32 s7, s7, s2
.LBB25_7:
	s_branch .LBB25_10
.LBB25_8:
	s_cmp_eq_u32 s4, 0x79
	s_mov_b32 s7, -1
	s_cbranch_scc0 .LBB25_10
; %bb.9:
	v_cmp_gt_u32_e32 vcc_lo, v1, v0
	v_cmp_le_u32_e64 s2, v1, v0
	s_and_not1_b32 s4, s6, exec_lo
	s_and_b32 s6, vcc_lo, exec_lo
	s_or_not1_b32 s7, s2, exec_lo
	s_or_b32 s6, s4, s6
.LBB25_10:
	s_and_saveexec_b32 s2, s7
; %bb.11:
	v_cmp_eq_u32_e32 vcc_lo, v0, v1
	s_cmp_eq_u32 s5, 0x83
	s_cselect_b32 s4, -1, 0
	s_and_not1_b32 s5, s6, exec_lo
	s_and_b32 s4, s4, vcc_lo
	s_delay_alu instid0(SALU_CYCLE_1) | instskip(NEXT) | instid1(SALU_CYCLE_1)
	s_and_b32 s4, s4, exec_lo
	s_or_b32 s6, s5, s4
; %bb.12:
	s_or_b32 exec_lo, exec_lo, s2
	s_delay_alu instid0(SALU_CYCLE_1)
	s_and_b32 exec_lo, exec_lo, s6
	s_cbranch_execz .LBB25_14
; %bb.13:
	s_load_b256 s[4:11], s[0:1], 0x10
	s_bfe_u32 s2, ttmp6, 0x40014
	s_lshr_b32 s16, ttmp7, 16
	s_add_co_i32 s2, s2, 1
	s_bfe_u32 s17, ttmp6, 0x40008
	s_mul_i32 s2, s16, s2
	s_wait_xcnt 0x0
	s_ashr_i32 s1, s13, 31
	s_ashr_i32 s15, s14, 31
	s_add_co_i32 s2, s17, s2
	s_mov_b32 s0, s13
	s_wait_kmcnt 0x0
	s_ashr_i32 s17, s6, 31
	s_cmp_eq_u32 s3, 0
	s_mov_b32 s3, 0
	s_cselect_b32 s2, s16, s2
	s_mov_b32 s16, s6
	s_mul_u64 s[0:1], s[0:1], s[2:3]
	s_mul_u64 s[8:9], s[8:9], s[2:3]
	;; [unrolled: 1-line block ×3, first 2 shown]
	s_lshl_b64 s[2:3], s[8:9], 2
	s_lshl_b64 s[8:9], s[16:17], 2
	;; [unrolled: 1-line block ×3, first 2 shown]
	s_cmp_eq_u32 s12, 0
	s_add_nc_u64 s[2:3], s[4:5], s[2:3]
	s_cselect_b32 s6, s7, s13
	s_add_nc_u64 s[2:3], s[2:3], s[8:9]
	v_mad_u32 v2, v1, s6, v0
	s_add_nc_u64 s[0:1], s[10:11], s[0:1]
	s_delay_alu instid0(SALU_CYCLE_1)
	s_cselect_b32 s5, s3, s1
	s_cselect_b32 s4, s2, s0
	;; [unrolled: 1-line block ×4, first 2 shown]
	global_load_b32 v2, v2, s[4:5] scale_offset
	s_wait_xcnt 0x0
	s_cselect_b32 s4, s13, s7
	s_delay_alu instid0(SALU_CYCLE_1)
	v_mad_u32 v0, v1, s4, v0
	s_wait_loadcnt 0x0
	global_store_b32 v0, v2, s[0:1] scale_offset
.LBB25_14:
	s_endpgm
	.section	.rodata,"a",@progbits
	.p2align	6, 0x0
	.amdhsa_kernel _ZN9rocsolver6v33100L8copy_matIfPfNS0_7no_maskEEEvNS0_17copymat_directionEiiT0_iilPT_T1_13rocblas_fill_17rocblas_diagonal_
		.amdhsa_group_segment_fixed_size 0
		.amdhsa_private_segment_fixed_size 0
		.amdhsa_kernarg_size 320
		.amdhsa_user_sgpr_count 2
		.amdhsa_user_sgpr_dispatch_ptr 0
		.amdhsa_user_sgpr_queue_ptr 0
		.amdhsa_user_sgpr_kernarg_segment_ptr 1
		.amdhsa_user_sgpr_dispatch_id 0
		.amdhsa_user_sgpr_kernarg_preload_length 0
		.amdhsa_user_sgpr_kernarg_preload_offset 0
		.amdhsa_user_sgpr_private_segment_size 0
		.amdhsa_wavefront_size32 1
		.amdhsa_uses_dynamic_stack 0
		.amdhsa_enable_private_segment 0
		.amdhsa_system_sgpr_workgroup_id_x 1
		.amdhsa_system_sgpr_workgroup_id_y 1
		.amdhsa_system_sgpr_workgroup_id_z 1
		.amdhsa_system_sgpr_workgroup_info 0
		.amdhsa_system_vgpr_workitem_id 1
		.amdhsa_next_free_vgpr 3
		.amdhsa_next_free_sgpr 18
		.amdhsa_named_barrier_count 0
		.amdhsa_reserve_vcc 1
		.amdhsa_float_round_mode_32 0
		.amdhsa_float_round_mode_16_64 0
		.amdhsa_float_denorm_mode_32 3
		.amdhsa_float_denorm_mode_16_64 3
		.amdhsa_fp16_overflow 0
		.amdhsa_memory_ordered 1
		.amdhsa_forward_progress 1
		.amdhsa_inst_pref_size 5
		.amdhsa_round_robin_scheduling 0
		.amdhsa_exception_fp_ieee_invalid_op 0
		.amdhsa_exception_fp_denorm_src 0
		.amdhsa_exception_fp_ieee_div_zero 0
		.amdhsa_exception_fp_ieee_overflow 0
		.amdhsa_exception_fp_ieee_underflow 0
		.amdhsa_exception_fp_ieee_inexact 0
		.amdhsa_exception_int_div_zero 0
	.end_amdhsa_kernel
	.section	.text._ZN9rocsolver6v33100L8copy_matIfPfNS0_7no_maskEEEvNS0_17copymat_directionEiiT0_iilPT_T1_13rocblas_fill_17rocblas_diagonal_,"axG",@progbits,_ZN9rocsolver6v33100L8copy_matIfPfNS0_7no_maskEEEvNS0_17copymat_directionEiiT0_iilPT_T1_13rocblas_fill_17rocblas_diagonal_,comdat
.Lfunc_end25:
	.size	_ZN9rocsolver6v33100L8copy_matIfPfNS0_7no_maskEEEvNS0_17copymat_directionEiiT0_iilPT_T1_13rocblas_fill_17rocblas_diagonal_, .Lfunc_end25-_ZN9rocsolver6v33100L8copy_matIfPfNS0_7no_maskEEEvNS0_17copymat_directionEiiT0_iilPT_T1_13rocblas_fill_17rocblas_diagonal_
                                        ; -- End function
	.set _ZN9rocsolver6v33100L8copy_matIfPfNS0_7no_maskEEEvNS0_17copymat_directionEiiT0_iilPT_T1_13rocblas_fill_17rocblas_diagonal_.num_vgpr, 3
	.set _ZN9rocsolver6v33100L8copy_matIfPfNS0_7no_maskEEEvNS0_17copymat_directionEiiT0_iilPT_T1_13rocblas_fill_17rocblas_diagonal_.num_agpr, 0
	.set _ZN9rocsolver6v33100L8copy_matIfPfNS0_7no_maskEEEvNS0_17copymat_directionEiiT0_iilPT_T1_13rocblas_fill_17rocblas_diagonal_.numbered_sgpr, 18
	.set _ZN9rocsolver6v33100L8copy_matIfPfNS0_7no_maskEEEvNS0_17copymat_directionEiiT0_iilPT_T1_13rocblas_fill_17rocblas_diagonal_.num_named_barrier, 0
	.set _ZN9rocsolver6v33100L8copy_matIfPfNS0_7no_maskEEEvNS0_17copymat_directionEiiT0_iilPT_T1_13rocblas_fill_17rocblas_diagonal_.private_seg_size, 0
	.set _ZN9rocsolver6v33100L8copy_matIfPfNS0_7no_maskEEEvNS0_17copymat_directionEiiT0_iilPT_T1_13rocblas_fill_17rocblas_diagonal_.uses_vcc, 1
	.set _ZN9rocsolver6v33100L8copy_matIfPfNS0_7no_maskEEEvNS0_17copymat_directionEiiT0_iilPT_T1_13rocblas_fill_17rocblas_diagonal_.uses_flat_scratch, 0
	.set _ZN9rocsolver6v33100L8copy_matIfPfNS0_7no_maskEEEvNS0_17copymat_directionEiiT0_iilPT_T1_13rocblas_fill_17rocblas_diagonal_.has_dyn_sized_stack, 0
	.set _ZN9rocsolver6v33100L8copy_matIfPfNS0_7no_maskEEEvNS0_17copymat_directionEiiT0_iilPT_T1_13rocblas_fill_17rocblas_diagonal_.has_recursion, 0
	.set _ZN9rocsolver6v33100L8copy_matIfPfNS0_7no_maskEEEvNS0_17copymat_directionEiiT0_iilPT_T1_13rocblas_fill_17rocblas_diagonal_.has_indirect_call, 0
	.section	.AMDGPU.csdata,"",@progbits
; Kernel info:
; codeLenInByte = 604
; TotalNumSgprs: 20
; NumVgprs: 3
; ScratchSize: 0
; MemoryBound: 0
; FloatMode: 240
; IeeeMode: 1
; LDSByteSize: 0 bytes/workgroup (compile time only)
; SGPRBlocks: 0
; VGPRBlocks: 0
; NumSGPRsForWavesPerEU: 20
; NumVGPRsForWavesPerEU: 3
; NamedBarCnt: 0
; Occupancy: 16
; WaveLimiterHint : 0
; COMPUTE_PGM_RSRC2:SCRATCH_EN: 0
; COMPUTE_PGM_RSRC2:USER_SGPR: 2
; COMPUTE_PGM_RSRC2:TRAP_HANDLER: 0
; COMPUTE_PGM_RSRC2:TGID_X_EN: 1
; COMPUTE_PGM_RSRC2:TGID_Y_EN: 1
; COMPUTE_PGM_RSRC2:TGID_Z_EN: 1
; COMPUTE_PGM_RSRC2:TIDIG_COMP_CNT: 1
	.section	.text._ZN9rocsolver6v33100L11stedc_copyDIfEEviPT_lS3_l,"axG",@progbits,_ZN9rocsolver6v33100L11stedc_copyDIfEEviPT_lS3_l,comdat
	.globl	_ZN9rocsolver6v33100L11stedc_copyDIfEEviPT_lS3_l ; -- Begin function _ZN9rocsolver6v33100L11stedc_copyDIfEEviPT_lS3_l
	.p2align	8
	.type	_ZN9rocsolver6v33100L11stedc_copyDIfEEviPT_lS3_l,@function
_ZN9rocsolver6v33100L11stedc_copyDIfEEviPT_lS3_l: ; @_ZN9rocsolver6v33100L11stedc_copyDIfEEviPT_lS3_l
; %bb.0:
	s_clause 0x1
	s_load_b32 s2, s[0:1], 0x34
	s_load_b32 s21, s[0:1], 0x0
	s_wait_kmcnt 0x0
	s_and_b32 s15, s2, 0xffff
	s_add_co_i32 s4, s21, -1
	s_lshl_b32 s20, s15, 4
	s_abs_i32 s5, s4
	s_cvt_f32_u32 s2, s20
	s_sub_co_i32 s3, 0, s20
	s_ashr_i32 s4, s4, 31
	s_delay_alu instid0(SALU_CYCLE_1) | instskip(SKIP_1) | instid1(TRANS32_DEP_1)
	v_rcp_iflag_f32_e32 v1, s2
	v_nop
	v_readfirstlane_b32 s2, v1
	s_mul_f32 s2, s2, 0x4f7ffffe
	s_delay_alu instid0(SALU_CYCLE_3) | instskip(NEXT) | instid1(SALU_CYCLE_3)
	s_cvt_u32_f32 s2, s2
	s_mul_i32 s3, s3, s2
	s_delay_alu instid0(SALU_CYCLE_1) | instskip(NEXT) | instid1(SALU_CYCLE_1)
	s_mul_hi_u32 s3, s2, s3
	s_add_co_i32 s2, s2, s3
	s_delay_alu instid0(SALU_CYCLE_1) | instskip(NEXT) | instid1(SALU_CYCLE_1)
	s_mul_hi_u32 s2, s5, s2
	s_mul_i32 s3, s2, s20
	s_delay_alu instid0(SALU_CYCLE_1)
	s_sub_co_i32 s3, s5, s3
	s_add_co_i32 s5, s2, 1
	s_sub_co_i32 s6, s3, s20
	s_cmp_ge_u32 s3, s20
	s_cselect_b32 s2, s5, s2
	s_cselect_b32 s3, s6, s3
	s_add_co_i32 s5, s2, 1
	s_cmp_ge_u32 s3, s20
	s_cselect_b32 s2, s5, s2
	s_delay_alu instid0(SALU_CYCLE_1) | instskip(NEXT) | instid1(SALU_CYCLE_1)
	s_xor_b32 s2, s2, s4
	s_sub_co_i32 s2, s2, s4
	s_delay_alu instid0(SALU_CYCLE_1)
	s_cmp_lt_i32 s2, 0
	s_cbranch_scc1 .LBB26_67
; %bb.1:
	s_load_b256 s[4:11], s[0:1], 0x8
	s_wait_xcnt 0x0
	s_bfe_u32 s0, ttmp6, 0x40010
	s_bfe_u32 s1, ttmp6, 0x40004
	s_add_co_i32 s0, s0, 1
	s_getreg_b32 s3, hwreg(HW_REG_IB_STS2, 6, 4)
	s_mul_i32 s0, ttmp7, s0
	v_mov_b32_e32 v2, 0
	s_add_co_i32 s1, s1, s0
	s_cmp_eq_u32 s3, 0
	s_mul_i32 s22, s15, 3
	s_cselect_b32 s0, ttmp7, s1
	s_add_co_i32 s27, s2, 1
	s_ashr_i32 s1, s0, 31
	v_dual_mov_b32 v1, v2 :: v_dual_mov_b32 v4, v2
	v_dual_mov_b32 v3, v2 :: v_dual_mov_b32 v6, v2
	;; [unrolled: 1-line block ×4, first 2 shown]
	s_wait_kmcnt 0x0
	s_mul_u64 s[2:3], s[6:7], s[0:1]
	s_mul_u64 s[0:1], s[10:11], s[0:1]
	v_dual_mov_b32 v9, v2 :: v_dual_mov_b32 v12, v2
	v_dual_mov_b32 v11, v2 :: v_dual_mov_b32 v14, v2
	;; [unrolled: 1-line block ×3, first 2 shown]
	v_mov_b32_e32 v15, v2
	s_lshl_b64 s[2:3], s[2:3], 2
	s_lshl_b64 s[0:1], s[0:1], 2
	s_mul_i32 s23, s15, 5
	s_mul_i32 s24, s15, 6
	;; [unrolled: 1-line block ×4, first 2 shown]
	s_lshl_b32 s28, s15, 1
	s_lshl_b32 s29, s15, 2
	;; [unrolled: 1-line block ×3, first 2 shown]
	s_add_nc_u64 s[16:17], s[4:5], s[2:3]
	s_add_nc_u64 s[18:19], s[8:9], s[0:1]
	s_mul_i32 s31, s15, 10
	s_mul_i32 s33, s15, 11
	;; [unrolled: 1-line block ×6, first 2 shown]
	s_branch .LBB26_3
.LBB26_2:                               ;   in Loop: Header=BB26_3 Depth=1
	s_wait_xcnt 0x0
	s_or_b32 exec_lo, exec_lo, s0
	v_add_nc_u32_e32 v0, s20, v0
	s_add_co_i32 s27, s27, -1
	s_delay_alu instid0(SALU_CYCLE_1)
	s_cmp_eq_u32 s27, 0
	s_cbranch_scc1 .LBB26_67
.LBB26_3:                               ; =>This Inner Loop Header: Depth=1
	s_delay_alu instid0(VALU_DEP_1)
	v_cmp_gt_i32_e32 vcc_lo, s21, v0
	s_and_saveexec_b32 s0, vcc_lo
	s_cbranch_execz .LBB26_5
; %bb.4:                                ;   in Loop: Header=BB26_3 Depth=1
	s_wait_loadcnt 0x0
	global_load_b32 v2, v0, s[16:17] scale_offset
.LBB26_5:                               ;   in Loop: Header=BB26_3 Depth=1
	s_wait_xcnt 0x0
	s_or_b32 exec_lo, exec_lo, s0
	v_add_nc_u32_e32 v17, s15, v0
	s_delay_alu instid0(VALU_DEP_1)
	v_cmp_gt_i32_e64 s0, s21, v17
	s_and_saveexec_b32 s1, s0
	s_cbranch_execz .LBB26_7
; %bb.6:                                ;   in Loop: Header=BB26_3 Depth=1
	s_wait_loadcnt 0x0
	global_load_b32 v1, v17, s[16:17] scale_offset
.LBB26_7:                               ;   in Loop: Header=BB26_3 Depth=1
	s_wait_xcnt 0x0
	s_or_b32 exec_lo, exec_lo, s1
	v_dual_add_nc_u32 v19, s15, v17 :: v_dual_add_nc_u32 v18, s28, v0
	s_delay_alu instid0(VALU_DEP_1)
	v_cmp_gt_i32_e64 s1, s21, v19
	s_and_saveexec_b32 s2, s1
	s_cbranch_execz .LBB26_9
; %bb.8:                                ;   in Loop: Header=BB26_3 Depth=1
	s_wait_loadcnt 0x0
	global_load_b32 v4, v18, s[16:17] scale_offset
.LBB26_9:                               ;   in Loop: Header=BB26_3 Depth=1
	s_wait_xcnt 0x0
	s_or_b32 exec_lo, exec_lo, s2
	v_dual_add_nc_u32 v20, s15, v19 :: v_dual_add_nc_u32 v19, s22, v0
	s_delay_alu instid0(VALU_DEP_1)
	v_cmp_gt_i32_e64 s2, s21, v20
	s_and_saveexec_b32 s3, s2
	s_cbranch_execz .LBB26_11
; %bb.10:                               ;   in Loop: Header=BB26_3 Depth=1
	s_wait_loadcnt 0x0
	global_load_b32 v3, v19, s[16:17] scale_offset
.LBB26_11:                              ;   in Loop: Header=BB26_3 Depth=1
	s_wait_xcnt 0x0
	s_or_b32 exec_lo, exec_lo, s3
	v_add_nc_u32_e32 v21, s15, v20
	v_add_nc_u32_e32 v20, s29, v0
	s_delay_alu instid0(VALU_DEP_2)
	v_cmp_gt_i32_e64 s3, s21, v21
	s_and_saveexec_b32 s4, s3
	s_cbranch_execz .LBB26_13
; %bb.12:                               ;   in Loop: Header=BB26_3 Depth=1
	s_wait_loadcnt 0x0
	global_load_b32 v6, v20, s[16:17] scale_offset
.LBB26_13:                              ;   in Loop: Header=BB26_3 Depth=1
	s_wait_xcnt 0x0
	s_or_b32 exec_lo, exec_lo, s4
	v_dual_add_nc_u32 v22, s15, v21 :: v_dual_add_nc_u32 v21, s23, v0
	s_delay_alu instid0(VALU_DEP_1)
	v_cmp_gt_i32_e64 s4, s21, v22
	s_and_saveexec_b32 s5, s4
	s_cbranch_execz .LBB26_15
; %bb.14:                               ;   in Loop: Header=BB26_3 Depth=1
	s_wait_loadcnt 0x0
	global_load_b32 v5, v21, s[16:17] scale_offset
.LBB26_15:                              ;   in Loop: Header=BB26_3 Depth=1
	s_wait_xcnt 0x0
	s_or_b32 exec_lo, exec_lo, s5
	v_dual_add_nc_u32 v23, s15, v22 :: v_dual_add_nc_u32 v22, s24, v0
	s_delay_alu instid0(VALU_DEP_1)
	v_cmp_gt_i32_e64 s5, s21, v23
	s_and_saveexec_b32 s6, s5
	s_cbranch_execz .LBB26_17
; %bb.16:                               ;   in Loop: Header=BB26_3 Depth=1
	s_wait_loadcnt 0x0
	global_load_b32 v8, v22, s[16:17] scale_offset
.LBB26_17:                              ;   in Loop: Header=BB26_3 Depth=1
	s_wait_xcnt 0x0
	s_or_b32 exec_lo, exec_lo, s6
	v_dual_add_nc_u32 v24, s15, v23 :: v_dual_add_nc_u32 v23, s25, v0
	s_delay_alu instid0(VALU_DEP_1)
	v_cmp_gt_i32_e64 s6, s21, v24
	s_and_saveexec_b32 s7, s6
	s_cbranch_execz .LBB26_19
; %bb.18:                               ;   in Loop: Header=BB26_3 Depth=1
	s_wait_loadcnt 0x0
	global_load_b32 v7, v23, s[16:17] scale_offset
.LBB26_19:                              ;   in Loop: Header=BB26_3 Depth=1
	s_wait_xcnt 0x0
	s_or_b32 exec_lo, exec_lo, s7
	v_add_nc_u32_e32 v25, s15, v24
	v_add_nc_u32_e32 v24, s30, v0
	s_delay_alu instid0(VALU_DEP_2)
	v_cmp_gt_i32_e64 s7, s21, v25
	s_and_saveexec_b32 s8, s7
	s_cbranch_execz .LBB26_21
; %bb.20:                               ;   in Loop: Header=BB26_3 Depth=1
	s_wait_loadcnt 0x0
	global_load_b32 v10, v24, s[16:17] scale_offset
.LBB26_21:                              ;   in Loop: Header=BB26_3 Depth=1
	s_wait_xcnt 0x0
	s_or_b32 exec_lo, exec_lo, s8
	v_dual_add_nc_u32 v26, s15, v25 :: v_dual_add_nc_u32 v25, s26, v0
	s_delay_alu instid0(VALU_DEP_1)
	v_cmp_gt_i32_e64 s8, s21, v26
	s_and_saveexec_b32 s9, s8
	s_cbranch_execz .LBB26_23
; %bb.22:                               ;   in Loop: Header=BB26_3 Depth=1
	s_wait_loadcnt 0x0
	global_load_b32 v9, v25, s[16:17] scale_offset
.LBB26_23:                              ;   in Loop: Header=BB26_3 Depth=1
	s_wait_xcnt 0x0
	s_or_b32 exec_lo, exec_lo, s9
	v_dual_add_nc_u32 v27, s15, v26 :: v_dual_add_nc_u32 v26, s31, v0
	s_delay_alu instid0(VALU_DEP_1)
	v_cmp_gt_i32_e64 s9, s21, v27
	s_and_saveexec_b32 s10, s9
	s_cbranch_execz .LBB26_25
; %bb.24:                               ;   in Loop: Header=BB26_3 Depth=1
	s_wait_loadcnt 0x0
	global_load_b32 v12, v26, s[16:17] scale_offset
.LBB26_25:                              ;   in Loop: Header=BB26_3 Depth=1
	;; [unrolled: 45-line block ×3, first 2 shown]
	s_wait_xcnt 0x0
	s_or_b32 exec_lo, exec_lo, s14
	v_dual_add_nc_u32 v32, s15, v31 :: v_dual_add_nc_u32 v31, s37, v0
	s_delay_alu instid0(VALU_DEP_1)
	v_cmp_gt_i32_e64 s14, s21, v32
	s_and_saveexec_b32 s38, s14
	s_cbranch_execnz .LBB26_50
; %bb.34:                               ;   in Loop: Header=BB26_3 Depth=1
	s_or_b32 exec_lo, exec_lo, s38
	s_and_saveexec_b32 s38, vcc_lo
	s_cbranch_execnz .LBB26_51
.LBB26_35:                              ;   in Loop: Header=BB26_3 Depth=1
	s_or_b32 exec_lo, exec_lo, s38
	s_and_saveexec_b32 s38, s0
	s_cbranch_execnz .LBB26_52
.LBB26_36:                              ;   in Loop: Header=BB26_3 Depth=1
	s_or_b32 exec_lo, exec_lo, s38
	s_and_saveexec_b32 s0, s1
	s_cbranch_execnz .LBB26_53
.LBB26_37:                              ;   in Loop: Header=BB26_3 Depth=1
	s_or_b32 exec_lo, exec_lo, s0
	s_and_saveexec_b32 s0, s2
	s_cbranch_execnz .LBB26_54
.LBB26_38:                              ;   in Loop: Header=BB26_3 Depth=1
	s_or_b32 exec_lo, exec_lo, s0
	s_and_saveexec_b32 s0, s3
	s_cbranch_execnz .LBB26_55
.LBB26_39:                              ;   in Loop: Header=BB26_3 Depth=1
	s_or_b32 exec_lo, exec_lo, s0
	s_and_saveexec_b32 s0, s4
	s_cbranch_execnz .LBB26_56
.LBB26_40:                              ;   in Loop: Header=BB26_3 Depth=1
	s_or_b32 exec_lo, exec_lo, s0
	s_and_saveexec_b32 s0, s5
	s_cbranch_execnz .LBB26_57
.LBB26_41:                              ;   in Loop: Header=BB26_3 Depth=1
	s_or_b32 exec_lo, exec_lo, s0
	s_and_saveexec_b32 s0, s6
	s_cbranch_execnz .LBB26_58
.LBB26_42:                              ;   in Loop: Header=BB26_3 Depth=1
	s_or_b32 exec_lo, exec_lo, s0
	s_and_saveexec_b32 s0, s7
	s_cbranch_execnz .LBB26_59
.LBB26_43:                              ;   in Loop: Header=BB26_3 Depth=1
	s_or_b32 exec_lo, exec_lo, s0
	s_and_saveexec_b32 s0, s8
	s_cbranch_execnz .LBB26_60
.LBB26_44:                              ;   in Loop: Header=BB26_3 Depth=1
	s_or_b32 exec_lo, exec_lo, s0
	s_and_saveexec_b32 s0, s9
	s_cbranch_execnz .LBB26_61
.LBB26_45:                              ;   in Loop: Header=BB26_3 Depth=1
	s_or_b32 exec_lo, exec_lo, s0
	s_and_saveexec_b32 s0, s10
	s_cbranch_execnz .LBB26_62
.LBB26_46:                              ;   in Loop: Header=BB26_3 Depth=1
	s_or_b32 exec_lo, exec_lo, s0
	s_and_saveexec_b32 s0, s11
	s_cbranch_execnz .LBB26_63
.LBB26_47:                              ;   in Loop: Header=BB26_3 Depth=1
	s_or_b32 exec_lo, exec_lo, s0
	s_and_saveexec_b32 s0, s12
	s_cbranch_execnz .LBB26_64
.LBB26_48:                              ;   in Loop: Header=BB26_3 Depth=1
	s_or_b32 exec_lo, exec_lo, s0
	s_and_saveexec_b32 s0, s13
	s_cbranch_execnz .LBB26_65
.LBB26_49:                              ;   in Loop: Header=BB26_3 Depth=1
	s_or_b32 exec_lo, exec_lo, s0
	s_and_saveexec_b32 s0, s14
	s_cbranch_execz .LBB26_2
	s_branch .LBB26_66
.LBB26_50:                              ;   in Loop: Header=BB26_3 Depth=1
	s_wait_loadcnt 0x0
	global_load_b32 v15, v31, s[16:17] scale_offset
	s_wait_xcnt 0x0
	s_or_b32 exec_lo, exec_lo, s38
	s_and_saveexec_b32 s38, vcc_lo
	s_cbranch_execz .LBB26_35
.LBB26_51:                              ;   in Loop: Header=BB26_3 Depth=1
	s_wait_loadcnt 0x0
	global_store_b32 v0, v2, s[18:19] scale_offset
	s_wait_xcnt 0x0
	s_or_b32 exec_lo, exec_lo, s38
	s_and_saveexec_b32 s38, s0
	s_cbranch_execz .LBB26_36
.LBB26_52:                              ;   in Loop: Header=BB26_3 Depth=1
	s_wait_loadcnt 0x0
	global_store_b32 v17, v1, s[18:19] scale_offset
	s_wait_xcnt 0x0
	s_or_b32 exec_lo, exec_lo, s38
	s_and_saveexec_b32 s0, s1
	s_cbranch_execz .LBB26_37
.LBB26_53:                              ;   in Loop: Header=BB26_3 Depth=1
	s_wait_loadcnt 0x0
	global_store_b32 v18, v4, s[18:19] scale_offset
	s_wait_xcnt 0x0
	s_or_b32 exec_lo, exec_lo, s0
	s_and_saveexec_b32 s0, s2
	s_cbranch_execz .LBB26_38
.LBB26_54:                              ;   in Loop: Header=BB26_3 Depth=1
	s_wait_loadcnt 0x0
	global_store_b32 v19, v3, s[18:19] scale_offset
	s_wait_xcnt 0x0
	s_or_b32 exec_lo, exec_lo, s0
	s_and_saveexec_b32 s0, s3
	s_cbranch_execz .LBB26_39
.LBB26_55:                              ;   in Loop: Header=BB26_3 Depth=1
	s_wait_loadcnt 0x0
	global_store_b32 v20, v6, s[18:19] scale_offset
	s_wait_xcnt 0x0
	s_or_b32 exec_lo, exec_lo, s0
	s_and_saveexec_b32 s0, s4
	s_cbranch_execz .LBB26_40
.LBB26_56:                              ;   in Loop: Header=BB26_3 Depth=1
	s_wait_loadcnt 0x0
	global_store_b32 v21, v5, s[18:19] scale_offset
	s_wait_xcnt 0x0
	s_or_b32 exec_lo, exec_lo, s0
	s_and_saveexec_b32 s0, s5
	s_cbranch_execz .LBB26_41
.LBB26_57:                              ;   in Loop: Header=BB26_3 Depth=1
	s_wait_loadcnt 0x0
	global_store_b32 v22, v8, s[18:19] scale_offset
	s_wait_xcnt 0x0
	s_or_b32 exec_lo, exec_lo, s0
	s_and_saveexec_b32 s0, s6
	s_cbranch_execz .LBB26_42
.LBB26_58:                              ;   in Loop: Header=BB26_3 Depth=1
	s_wait_loadcnt 0x0
	global_store_b32 v23, v7, s[18:19] scale_offset
	s_wait_xcnt 0x0
	s_or_b32 exec_lo, exec_lo, s0
	s_and_saveexec_b32 s0, s7
	s_cbranch_execz .LBB26_43
.LBB26_59:                              ;   in Loop: Header=BB26_3 Depth=1
	s_wait_loadcnt 0x0
	global_store_b32 v24, v10, s[18:19] scale_offset
	s_wait_xcnt 0x0
	s_or_b32 exec_lo, exec_lo, s0
	s_and_saveexec_b32 s0, s8
	s_cbranch_execz .LBB26_44
.LBB26_60:                              ;   in Loop: Header=BB26_3 Depth=1
	s_wait_loadcnt 0x0
	global_store_b32 v25, v9, s[18:19] scale_offset
	s_wait_xcnt 0x0
	s_or_b32 exec_lo, exec_lo, s0
	s_and_saveexec_b32 s0, s9
	s_cbranch_execz .LBB26_45
.LBB26_61:                              ;   in Loop: Header=BB26_3 Depth=1
	s_wait_loadcnt 0x0
	global_store_b32 v26, v12, s[18:19] scale_offset
	s_wait_xcnt 0x0
	s_or_b32 exec_lo, exec_lo, s0
	s_and_saveexec_b32 s0, s10
	s_cbranch_execz .LBB26_46
.LBB26_62:                              ;   in Loop: Header=BB26_3 Depth=1
	s_wait_loadcnt 0x0
	global_store_b32 v27, v11, s[18:19] scale_offset
	s_wait_xcnt 0x0
	s_or_b32 exec_lo, exec_lo, s0
	s_and_saveexec_b32 s0, s11
	s_cbranch_execz .LBB26_47
.LBB26_63:                              ;   in Loop: Header=BB26_3 Depth=1
	s_wait_loadcnt 0x0
	global_store_b32 v28, v14, s[18:19] scale_offset
	s_wait_xcnt 0x0
	s_or_b32 exec_lo, exec_lo, s0
	s_and_saveexec_b32 s0, s12
	s_cbranch_execz .LBB26_48
.LBB26_64:                              ;   in Loop: Header=BB26_3 Depth=1
	s_wait_loadcnt 0x0
	global_store_b32 v29, v13, s[18:19] scale_offset
	s_wait_xcnt 0x0
	s_or_b32 exec_lo, exec_lo, s0
	s_and_saveexec_b32 s0, s13
	s_cbranch_execz .LBB26_49
.LBB26_65:                              ;   in Loop: Header=BB26_3 Depth=1
	s_wait_loadcnt 0x0
	global_store_b32 v30, v16, s[18:19] scale_offset
	s_wait_xcnt 0x0
	s_or_b32 exec_lo, exec_lo, s0
	s_and_saveexec_b32 s0, s14
	s_cbranch_execz .LBB26_2
.LBB26_66:                              ;   in Loop: Header=BB26_3 Depth=1
	s_wait_loadcnt 0x0
	global_store_b32 v31, v15, s[18:19] scale_offset
	s_branch .LBB26_2
.LBB26_67:
	s_endpgm
	.section	.rodata,"a",@progbits
	.p2align	6, 0x0
	.amdhsa_kernel _ZN9rocsolver6v33100L11stedc_copyDIfEEviPT_lS3_l
		.amdhsa_group_segment_fixed_size 0
		.amdhsa_private_segment_fixed_size 0
		.amdhsa_kernarg_size 296
		.amdhsa_user_sgpr_count 2
		.amdhsa_user_sgpr_dispatch_ptr 0
		.amdhsa_user_sgpr_queue_ptr 0
		.amdhsa_user_sgpr_kernarg_segment_ptr 1
		.amdhsa_user_sgpr_dispatch_id 0
		.amdhsa_user_sgpr_kernarg_preload_length 0
		.amdhsa_user_sgpr_kernarg_preload_offset 0
		.amdhsa_user_sgpr_private_segment_size 0
		.amdhsa_wavefront_size32 1
		.amdhsa_uses_dynamic_stack 0
		.amdhsa_enable_private_segment 0
		.amdhsa_system_sgpr_workgroup_id_x 1
		.amdhsa_system_sgpr_workgroup_id_y 1
		.amdhsa_system_sgpr_workgroup_id_z 0
		.amdhsa_system_sgpr_workgroup_info 0
		.amdhsa_system_vgpr_workitem_id 0
		.amdhsa_next_free_vgpr 33
		.amdhsa_next_free_sgpr 39
		.amdhsa_named_barrier_count 0
		.amdhsa_reserve_vcc 1
		.amdhsa_float_round_mode_32 0
		.amdhsa_float_round_mode_16_64 0
		.amdhsa_float_denorm_mode_32 3
		.amdhsa_float_denorm_mode_16_64 3
		.amdhsa_fp16_overflow 0
		.amdhsa_memory_ordered 1
		.amdhsa_forward_progress 1
		.amdhsa_inst_pref_size 16
		.amdhsa_round_robin_scheduling 0
		.amdhsa_exception_fp_ieee_invalid_op 0
		.amdhsa_exception_fp_denorm_src 0
		.amdhsa_exception_fp_ieee_div_zero 0
		.amdhsa_exception_fp_ieee_overflow 0
		.amdhsa_exception_fp_ieee_underflow 0
		.amdhsa_exception_fp_ieee_inexact 0
		.amdhsa_exception_int_div_zero 0
	.end_amdhsa_kernel
	.section	.text._ZN9rocsolver6v33100L11stedc_copyDIfEEviPT_lS3_l,"axG",@progbits,_ZN9rocsolver6v33100L11stedc_copyDIfEEviPT_lS3_l,comdat
.Lfunc_end26:
	.size	_ZN9rocsolver6v33100L11stedc_copyDIfEEviPT_lS3_l, .Lfunc_end26-_ZN9rocsolver6v33100L11stedc_copyDIfEEviPT_lS3_l
                                        ; -- End function
	.set _ZN9rocsolver6v33100L11stedc_copyDIfEEviPT_lS3_l.num_vgpr, 33
	.set _ZN9rocsolver6v33100L11stedc_copyDIfEEviPT_lS3_l.num_agpr, 0
	.set _ZN9rocsolver6v33100L11stedc_copyDIfEEviPT_lS3_l.numbered_sgpr, 39
	.set _ZN9rocsolver6v33100L11stedc_copyDIfEEviPT_lS3_l.num_named_barrier, 0
	.set _ZN9rocsolver6v33100L11stedc_copyDIfEEviPT_lS3_l.private_seg_size, 0
	.set _ZN9rocsolver6v33100L11stedc_copyDIfEEviPT_lS3_l.uses_vcc, 1
	.set _ZN9rocsolver6v33100L11stedc_copyDIfEEviPT_lS3_l.uses_flat_scratch, 0
	.set _ZN9rocsolver6v33100L11stedc_copyDIfEEviPT_lS3_l.has_dyn_sized_stack, 0
	.set _ZN9rocsolver6v33100L11stedc_copyDIfEEviPT_lS3_l.has_recursion, 0
	.set _ZN9rocsolver6v33100L11stedc_copyDIfEEviPT_lS3_l.has_indirect_call, 0
	.section	.AMDGPU.csdata,"",@progbits
; Kernel info:
; codeLenInByte = 1988
; TotalNumSgprs: 41
; NumVgprs: 33
; ScratchSize: 0
; MemoryBound: 0
; FloatMode: 240
; IeeeMode: 1
; LDSByteSize: 0 bytes/workgroup (compile time only)
; SGPRBlocks: 0
; VGPRBlocks: 2
; NumSGPRsForWavesPerEU: 41
; NumVGPRsForWavesPerEU: 33
; NamedBarCnt: 0
; Occupancy: 16
; WaveLimiterHint : 0
; COMPUTE_PGM_RSRC2:SCRATCH_EN: 0
; COMPUTE_PGM_RSRC2:USER_SGPR: 2
; COMPUTE_PGM_RSRC2:TRAP_HANDLER: 0
; COMPUTE_PGM_RSRC2:TGID_X_EN: 1
; COMPUTE_PGM_RSRC2:TGID_Y_EN: 1
; COMPUTE_PGM_RSRC2:TGID_Z_EN: 0
; COMPUTE_PGM_RSRC2:TIDIG_COMP_CNT: 0
	.section	.text._ZN9rocsolver6v33100L10stedc_sortIffPfS2_EEviPT0_lS4_lT1_iilT2_iil,"axG",@progbits,_ZN9rocsolver6v33100L10stedc_sortIffPfS2_EEviPT0_lS4_lT1_iilT2_iil,comdat
	.globl	_ZN9rocsolver6v33100L10stedc_sortIffPfS2_EEviPT0_lS4_lT1_iilT2_iil ; -- Begin function _ZN9rocsolver6v33100L10stedc_sortIffPfS2_EEviPT0_lS4_lT1_iilT2_iil
	.p2align	8
	.type	_ZN9rocsolver6v33100L10stedc_sortIffPfS2_EEviPT0_lS4_lT1_iilT2_iil,@function
_ZN9rocsolver6v33100L10stedc_sortIffPfS2_EEviPT0_lS4_lT1_iilT2_iil: ; @_ZN9rocsolver6v33100L10stedc_sortIffPfS2_EEviPT0_lS4_lT1_iilT2_iil
; %bb.0:
	s_clause 0x1
	s_load_b32 s2, s[0:1], 0x64
	s_load_b64 s[28:29], s[0:1], 0x28
	s_bfe_u32 s4, ttmp6, 0x4000c
	s_bfe_u32 s5, ttmp6, 0x40010
	s_add_co_i32 s4, s4, 1
	s_add_co_i32 s5, s5, 1
	s_and_b32 s3, ttmp6, 15
	s_bfe_u32 s6, ttmp6, 0x40004
	s_mul_i32 s4, ttmp9, s4
	s_mul_i32 s5, ttmp7, s5
	s_getreg_b32 s7, hwreg(HW_REG_IB_STS2, 6, 4)
	s_add_co_i32 s3, s3, s4
	s_add_co_i32 s6, s6, s5
	s_cmp_eq_u32 s7, 0
	s_load_b256 s[16:23], s[0:1], 0x8
	s_cselect_b32 s24, ttmp9, s3
	s_cselect_b32 s26, ttmp7, s6
	s_load_b32 s36, s[0:1], 0x0
	s_ashr_i32 s27, s26, 31
	s_ashr_i32 s25, s24, 31
	s_wait_kmcnt 0x0
	s_and_b32 s33, s2, 0xffff
	s_lshl_b64 s[30:31], s[24:25], 2
	s_lshl_b32 s37, s33, 4
	s_mul_i32 s25, s33, 5
	s_cvt_f32_u32 s2, s37
	s_sub_co_i32 s8, 0, s37
	s_mul_i32 s38, s33, 6
	s_mul_i32 s39, s33, 7
	v_rcp_iflag_f32_e32 v1, s2
	s_mov_b32 s2, -1
	s_mul_i32 s40, s33, 9
	s_mul_i32 s41, s33, 10
	s_mul_i32 s42, s33, 11
	s_mul_i32 s43, s33, 12
	s_mul_u64 s[4:5], s[18:19], s[26:27]
	v_nop
	v_readfirstlane_b32 s3, v1
	s_lshl_b64 s[4:5], s[4:5], 2
	s_add_co_i32 s6, s36, -1
	s_add_nc_u64 s[34:35], s[16:17], s[4:5]
	s_ashr_i32 s7, s6, 31
	s_mul_f32 s3, s3, 0x4f7ffffe
	s_abs_i32 s6, s6
	s_add_nc_u64 s[4:5], s[34:35], s[30:31]
	s_mul_i32 s19, s33, 3
	s_cvt_u32_f32 s3, s3
	s_load_b32 s48, s[4:5], 0x0
	s_mul_i32 s44, s33, 13
	s_mul_i32 s45, s33, 14
	;; [unrolled: 1-line block ×4, first 2 shown]
	s_mul_hi_u32 s8, s3, s8
	s_delay_alu instid0(SALU_CYCLE_1) | instskip(NEXT) | instid1(SALU_CYCLE_1)
	s_add_co_i32 s3, s3, s8
	s_mul_hi_u32 s3, s6, s3
	s_delay_alu instid0(SALU_CYCLE_1) | instskip(SKIP_3) | instid1(SALU_CYCLE_1)
	s_mul_i32 s8, s3, s37
	s_wait_xcnt 0x0
	s_add_co_i32 s5, s3, 1
	s_sub_co_i32 s4, s6, s8
	s_sub_co_i32 s6, s4, s37
	s_cmp_ge_u32 s4, s37
	s_cselect_b32 s3, s5, s3
	s_cselect_b32 s4, s6, s4
	s_add_co_i32 s5, s3, 1
	s_cmp_ge_u32 s4, s37
	s_cselect_b32 s3, s5, s3
	s_delay_alu instid0(SALU_CYCLE_1) | instskip(NEXT) | instid1(SALU_CYCLE_1)
	s_xor_b32 s3, s3, s7
	s_sub_co_i32 s47, s3, s7
	s_delay_alu instid0(SALU_CYCLE_1)
	s_cmp_gt_i32 s47, -1
	s_cselect_b32 s49, -1, 0
	s_cmp_lt_i32 s47, 0
	s_cbranch_scc1 .LBB27_67
; %bb.1:
	v_dual_mov_b32 v18, 0 :: v_dual_mov_b32 v1, v0
	s_add_co_i32 s50, s47, 1
	s_lshl_b32 s51, s33, 1
	s_lshl_b32 s52, s33, 2
	s_delay_alu instid0(VALU_DEP_1)
	v_dual_mov_b32 v19, v18 :: v_dual_mov_b32 v20, v18
	v_dual_mov_b32 v21, v18 :: v_dual_mov_b32 v22, v18
	;; [unrolled: 1-line block ×7, first 2 shown]
	v_mov_b32_e32 v33, v18
	v_mov_b64_e32 v[2:3], v[18:19]
	v_mov_b64_e32 v[4:5], v[20:21]
	;; [unrolled: 1-line block ×8, first 2 shown]
	s_lshl_b32 s53, s33, 3
	s_branch .LBB27_3
.LBB27_2:                               ;   in Loop: Header=BB27_3 Depth=1
	s_or_b32 exec_lo, exec_lo, s4
	v_add_nc_u32_e32 v1, s37, v1
	s_add_co_i32 s50, s50, -1
	s_delay_alu instid0(SALU_CYCLE_1)
	s_cmp_eq_u32 s50, 0
	s_cbranch_scc1 .LBB27_68
.LBB27_3:                               ; =>This Inner Loop Header: Depth=1
	s_delay_alu instid0(VALU_DEP_1)
	v_cmp_gt_i32_e64 s16, s36, v1
	s_and_saveexec_b32 s2, s16
	s_cbranch_execz .LBB27_5
; %bb.4:                                ;   in Loop: Header=BB27_3 Depth=1
	s_wait_loadcnt 0x0
	global_load_b32 v2, v1, s[34:35] scale_offset
.LBB27_5:                               ;   in Loop: Header=BB27_3 Depth=1
	s_wait_xcnt 0x0
	s_or_b32 exec_lo, exec_lo, s2
	v_add_nc_u32_e32 v35, s33, v1
	s_delay_alu instid0(VALU_DEP_1)
	v_cmp_gt_i32_e64 s15, s36, v35
	s_and_saveexec_b32 s2, s15
	s_cbranch_execz .LBB27_7
; %bb.6:                                ;   in Loop: Header=BB27_3 Depth=1
	s_wait_loadcnt 0x0
	global_load_b32 v3, v35, s[34:35] scale_offset
.LBB27_7:                               ;   in Loop: Header=BB27_3 Depth=1
	s_wait_xcnt 0x0
	s_or_b32 exec_lo, exec_lo, s2
	v_add_nc_u32_e32 v34, s51, v1
	;; [unrolled: 11-line block ×3, first 2 shown]
	s_delay_alu instid0(VALU_DEP_1)
	v_cmp_gt_i32_e64 s13, s36, v33
	s_and_saveexec_b32 s2, s13
	s_cbranch_execz .LBB27_11
; %bb.10:                               ;   in Loop: Header=BB27_3 Depth=1
	s_wait_loadcnt 0x0
	global_load_b32 v5, v33, s[34:35] scale_offset
.LBB27_11:                              ;   in Loop: Header=BB27_3 Depth=1
	s_wait_xcnt 0x0
	s_or_b32 exec_lo, exec_lo, s2
	v_add_nc_u32_e32 v32, s52, v1
	s_delay_alu instid0(VALU_DEP_1)
	v_cmp_gt_i32_e64 s12, s36, v32
	s_and_saveexec_b32 s2, s12
	s_cbranch_execz .LBB27_13
; %bb.12:                               ;   in Loop: Header=BB27_3 Depth=1
	s_wait_loadcnt 0x0
	global_load_b32 v6, v32, s[34:35] scale_offset
.LBB27_13:                              ;   in Loop: Header=BB27_3 Depth=1
	s_wait_xcnt 0x0
	s_or_b32 exec_lo, exec_lo, s2
	v_add_nc_u32_e32 v31, s25, v1
	s_delay_alu instid0(VALU_DEP_1)
	v_cmp_gt_i32_e64 s11, s36, v31
	s_and_saveexec_b32 s2, s11
	s_cbranch_execz .LBB27_15
; %bb.14:                               ;   in Loop: Header=BB27_3 Depth=1
	s_wait_loadcnt 0x0
	global_load_b32 v7, v31, s[34:35] scale_offset
.LBB27_15:                              ;   in Loop: Header=BB27_3 Depth=1
	s_wait_xcnt 0x0
	s_or_b32 exec_lo, exec_lo, s2
	v_add_nc_u32_e32 v30, s38, v1
	s_delay_alu instid0(VALU_DEP_1)
	v_cmp_gt_i32_e64 s10, s36, v30
	s_and_saveexec_b32 s2, s10
	s_cbranch_execz .LBB27_17
; %bb.16:                               ;   in Loop: Header=BB27_3 Depth=1
	s_wait_loadcnt 0x0
	global_load_b32 v8, v30, s[34:35] scale_offset
.LBB27_17:                              ;   in Loop: Header=BB27_3 Depth=1
	s_wait_xcnt 0x0
	s_or_b32 exec_lo, exec_lo, s2
	v_add_nc_u32_e32 v29, s39, v1
	s_delay_alu instid0(VALU_DEP_1)
	v_cmp_gt_i32_e64 s9, s36, v29
	s_and_saveexec_b32 s2, s9
	s_cbranch_execz .LBB27_19
; %bb.18:                               ;   in Loop: Header=BB27_3 Depth=1
	s_wait_loadcnt 0x0
	global_load_b32 v9, v29, s[34:35] scale_offset
.LBB27_19:                              ;   in Loop: Header=BB27_3 Depth=1
	s_wait_xcnt 0x0
	s_or_b32 exec_lo, exec_lo, s2
	v_add_nc_u32_e32 v28, s53, v1
	s_delay_alu instid0(VALU_DEP_1)
	v_cmp_gt_i32_e64 s8, s36, v28
	s_and_saveexec_b32 s2, s8
	s_cbranch_execz .LBB27_21
; %bb.20:                               ;   in Loop: Header=BB27_3 Depth=1
	s_wait_loadcnt 0x0
	global_load_b32 v10, v28, s[34:35] scale_offset
.LBB27_21:                              ;   in Loop: Header=BB27_3 Depth=1
	s_wait_xcnt 0x0
	s_or_b32 exec_lo, exec_lo, s2
	v_add_nc_u32_e32 v27, s40, v1
	s_delay_alu instid0(VALU_DEP_1)
	v_cmp_gt_i32_e64 s7, s36, v27
	s_and_saveexec_b32 s2, s7
	s_cbranch_execz .LBB27_23
; %bb.22:                               ;   in Loop: Header=BB27_3 Depth=1
	s_wait_loadcnt 0x0
	global_load_b32 v11, v27, s[34:35] scale_offset
.LBB27_23:                              ;   in Loop: Header=BB27_3 Depth=1
	s_wait_xcnt 0x0
	s_or_b32 exec_lo, exec_lo, s2
	v_add_nc_u32_e32 v26, s41, v1
	s_delay_alu instid0(VALU_DEP_1)
	v_cmp_gt_i32_e64 s6, s36, v26
	s_and_saveexec_b32 s2, s6
	s_cbranch_execz .LBB27_25
; %bb.24:                               ;   in Loop: Header=BB27_3 Depth=1
	s_wait_loadcnt 0x0
	global_load_b32 v12, v26, s[34:35] scale_offset
.LBB27_25:                              ;   in Loop: Header=BB27_3 Depth=1
	s_wait_xcnt 0x0
	s_or_b32 exec_lo, exec_lo, s2
	v_add_nc_u32_e32 v25, s42, v1
	s_delay_alu instid0(VALU_DEP_1)
	v_cmp_gt_i32_e64 s5, s36, v25
	s_and_saveexec_b32 s2, s5
	s_cbranch_execz .LBB27_27
; %bb.26:                               ;   in Loop: Header=BB27_3 Depth=1
	s_wait_loadcnt 0x0
	global_load_b32 v13, v25, s[34:35] scale_offset
.LBB27_27:                              ;   in Loop: Header=BB27_3 Depth=1
	s_wait_xcnt 0x0
	s_or_b32 exec_lo, exec_lo, s2
	v_add_nc_u32_e32 v24, s43, v1
	s_delay_alu instid0(VALU_DEP_1)
	v_cmp_gt_i32_e64 s4, s36, v24
	s_and_saveexec_b32 s2, s4
	s_cbranch_execz .LBB27_29
; %bb.28:                               ;   in Loop: Header=BB27_3 Depth=1
	s_wait_loadcnt 0x0
	global_load_b32 v14, v24, s[34:35] scale_offset
.LBB27_29:                              ;   in Loop: Header=BB27_3 Depth=1
	s_wait_xcnt 0x0
	s_or_b32 exec_lo, exec_lo, s2
	v_add_nc_u32_e32 v23, s44, v1
	s_delay_alu instid0(VALU_DEP_1)
	v_cmp_gt_i32_e64 s3, s36, v23
	s_and_saveexec_b32 s2, s3
	s_cbranch_execz .LBB27_31
; %bb.30:                               ;   in Loop: Header=BB27_3 Depth=1
	s_wait_loadcnt 0x0
	global_load_b32 v15, v23, s[34:35] scale_offset
.LBB27_31:                              ;   in Loop: Header=BB27_3 Depth=1
	s_wait_xcnt 0x0
	s_or_b32 exec_lo, exec_lo, s2
	v_add_nc_u32_e32 v22, s45, v1
	s_delay_alu instid0(VALU_DEP_1)
	v_cmp_gt_i32_e64 s2, s36, v22
	s_and_saveexec_b32 s17, s2
	s_cbranch_execz .LBB27_33
; %bb.32:                               ;   in Loop: Header=BB27_3 Depth=1
	s_wait_loadcnt 0x0
	global_load_b32 v16, v22, s[34:35] scale_offset
.LBB27_33:                              ;   in Loop: Header=BB27_3 Depth=1
	s_wait_xcnt 0x0
	s_or_b32 exec_lo, exec_lo, s17
	v_add_nc_u32_e32 v21, s46, v1
	s_delay_alu instid0(VALU_DEP_1)
	v_cmp_gt_i32_e32 vcc_lo, s36, v21
	s_and_saveexec_b32 s17, vcc_lo
	s_cbranch_execnz .LBB27_50
; %bb.34:                               ;   in Loop: Header=BB27_3 Depth=1
	s_or_b32 exec_lo, exec_lo, s17
	s_and_saveexec_b32 s54, s16
	s_cbranch_execnz .LBB27_51
.LBB27_35:                              ;   in Loop: Header=BB27_3 Depth=1
	s_or_b32 exec_lo, exec_lo, s54
	s_and_saveexec_b32 s18, s15
	s_cbranch_execnz .LBB27_52
.LBB27_36:                              ;   in Loop: Header=BB27_3 Depth=1
	s_or_b32 exec_lo, exec_lo, s18
	s_and_saveexec_b32 s17, s14
	s_cbranch_execnz .LBB27_53
.LBB27_37:                              ;   in Loop: Header=BB27_3 Depth=1
	s_or_b32 exec_lo, exec_lo, s17
	s_and_saveexec_b32 s16, s13
	s_cbranch_execnz .LBB27_54
.LBB27_38:                              ;   in Loop: Header=BB27_3 Depth=1
	s_or_b32 exec_lo, exec_lo, s16
	s_and_saveexec_b32 s15, s12
	s_cbranch_execnz .LBB27_55
.LBB27_39:                              ;   in Loop: Header=BB27_3 Depth=1
	s_or_b32 exec_lo, exec_lo, s15
	s_and_saveexec_b32 s14, s11
	s_cbranch_execnz .LBB27_56
.LBB27_40:                              ;   in Loop: Header=BB27_3 Depth=1
	s_or_b32 exec_lo, exec_lo, s14
	s_and_saveexec_b32 s13, s10
	s_cbranch_execnz .LBB27_57
.LBB27_41:                              ;   in Loop: Header=BB27_3 Depth=1
	s_or_b32 exec_lo, exec_lo, s13
	s_and_saveexec_b32 s12, s9
	s_cbranch_execnz .LBB27_58
.LBB27_42:                              ;   in Loop: Header=BB27_3 Depth=1
	s_or_b32 exec_lo, exec_lo, s12
	s_and_saveexec_b32 s11, s8
	s_cbranch_execnz .LBB27_59
.LBB27_43:                              ;   in Loop: Header=BB27_3 Depth=1
	s_or_b32 exec_lo, exec_lo, s11
	s_and_saveexec_b32 s10, s7
	s_cbranch_execnz .LBB27_60
.LBB27_44:                              ;   in Loop: Header=BB27_3 Depth=1
	s_or_b32 exec_lo, exec_lo, s10
	s_and_saveexec_b32 s9, s6
	s_cbranch_execnz .LBB27_61
.LBB27_45:                              ;   in Loop: Header=BB27_3 Depth=1
	s_or_b32 exec_lo, exec_lo, s9
	s_and_saveexec_b32 s8, s5
	s_cbranch_execnz .LBB27_62
.LBB27_46:                              ;   in Loop: Header=BB27_3 Depth=1
	s_or_b32 exec_lo, exec_lo, s8
	s_and_saveexec_b32 s7, s4
	s_cbranch_execnz .LBB27_63
.LBB27_47:                              ;   in Loop: Header=BB27_3 Depth=1
	s_or_b32 exec_lo, exec_lo, s7
	s_and_saveexec_b32 s6, s3
	s_cbranch_execnz .LBB27_64
.LBB27_48:                              ;   in Loop: Header=BB27_3 Depth=1
	s_or_b32 exec_lo, exec_lo, s6
	s_and_saveexec_b32 s5, s2
	s_cbranch_execnz .LBB27_65
.LBB27_49:                              ;   in Loop: Header=BB27_3 Depth=1
	s_or_b32 exec_lo, exec_lo, s5
	s_and_saveexec_b32 s4, vcc_lo
	s_cbranch_execz .LBB27_2
	s_branch .LBB27_66
.LBB27_50:                              ;   in Loop: Header=BB27_3 Depth=1
	s_wait_loadcnt 0x0
	global_load_b32 v17, v21, s[34:35] scale_offset
	s_wait_xcnt 0x0
	s_or_b32 exec_lo, exec_lo, s17
	s_and_saveexec_b32 s54, s16
	s_cbranch_execz .LBB27_35
.LBB27_51:                              ;   in Loop: Header=BB27_3 Depth=1
	s_wait_loadcnt 0x0
	v_cmp_u_f32_e64 s18, v2, v2
	s_wait_kmcnt 0x0
	v_cmp_eq_f32_e64 s16, s48, v2
	v_cmp_gt_i32_e64 s17, s24, v1
	s_delay_alu instid0(VALU_DEP_3) | instskip(SKIP_2) | instid1(SALU_CYCLE_1)
	v_add_co_ci_u32_e64 v18, null, 0, v18, s18
	v_cmp_gt_f32_e64 s18, s48, v2
	s_and_b32 s16, s16, s17
	v_add_co_ci_u32_e64 v20, null, 0, v20, s16
	v_add_co_ci_u32_e64 v19, null, 0, v19, s18
	s_or_b32 exec_lo, exec_lo, s54
	s_and_saveexec_b32 s18, s15
	s_cbranch_execz .LBB27_36
.LBB27_52:                              ;   in Loop: Header=BB27_3 Depth=1
	s_wait_loadcnt 0x0
	v_cmp_u_f32_e64 s17, v3, v3
	s_wait_kmcnt 0x0
	v_cmp_eq_f32_e64 s15, s48, v3
	v_cmp_gt_i32_e64 s16, s24, v35
	s_delay_alu instid0(VALU_DEP_3) | instskip(SKIP_2) | instid1(SALU_CYCLE_1)
	v_add_co_ci_u32_e64 v18, null, 0, v18, s17
	v_cmp_gt_f32_e64 s17, s48, v3
	s_and_b32 s15, s15, s16
	v_add_co_ci_u32_e64 v20, null, 0, v20, s15
	v_add_co_ci_u32_e64 v19, null, 0, v19, s17
	s_or_b32 exec_lo, exec_lo, s18
	s_and_saveexec_b32 s17, s14
	s_cbranch_execz .LBB27_37
.LBB27_53:                              ;   in Loop: Header=BB27_3 Depth=1
	s_wait_loadcnt 0x0
	v_cmp_u_f32_e64 s16, v4, v4
	s_wait_kmcnt 0x0
	v_cmp_eq_f32_e64 s14, s48, v4
	v_cmp_gt_i32_e64 s15, s24, v34
	s_delay_alu instid0(VALU_DEP_3) | instskip(SKIP_2) | instid1(SALU_CYCLE_1)
	v_add_co_ci_u32_e64 v18, null, 0, v18, s16
	v_cmp_gt_f32_e64 s16, s48, v4
	s_and_b32 s14, s14, s15
	v_add_co_ci_u32_e64 v20, null, 0, v20, s14
	v_add_co_ci_u32_e64 v19, null, 0, v19, s16
	s_or_b32 exec_lo, exec_lo, s17
	s_and_saveexec_b32 s16, s13
	s_cbranch_execz .LBB27_38
.LBB27_54:                              ;   in Loop: Header=BB27_3 Depth=1
	s_wait_loadcnt 0x0
	v_cmp_u_f32_e64 s15, v5, v5
	s_wait_kmcnt 0x0
	v_cmp_eq_f32_e64 s13, s48, v5
	v_cmp_gt_i32_e64 s14, s24, v33
	s_delay_alu instid0(VALU_DEP_3) | instskip(SKIP_2) | instid1(SALU_CYCLE_1)
	v_add_co_ci_u32_e64 v18, null, 0, v18, s15
	v_cmp_gt_f32_e64 s15, s48, v5
	s_and_b32 s13, s13, s14
	v_add_co_ci_u32_e64 v20, null, 0, v20, s13
	v_add_co_ci_u32_e64 v19, null, 0, v19, s15
	s_or_b32 exec_lo, exec_lo, s16
	s_and_saveexec_b32 s15, s12
	s_cbranch_execz .LBB27_39
.LBB27_55:                              ;   in Loop: Header=BB27_3 Depth=1
	s_wait_loadcnt 0x0
	v_cmp_u_f32_e64 s14, v6, v6
	s_wait_kmcnt 0x0
	v_cmp_eq_f32_e64 s12, s48, v6
	v_cmp_gt_i32_e64 s13, s24, v32
	s_delay_alu instid0(VALU_DEP_3) | instskip(SKIP_2) | instid1(SALU_CYCLE_1)
	v_add_co_ci_u32_e64 v18, null, 0, v18, s14
	v_cmp_gt_f32_e64 s14, s48, v6
	s_and_b32 s12, s12, s13
	v_add_co_ci_u32_e64 v20, null, 0, v20, s12
	v_add_co_ci_u32_e64 v19, null, 0, v19, s14
	s_or_b32 exec_lo, exec_lo, s15
	s_and_saveexec_b32 s14, s11
	s_cbranch_execz .LBB27_40
.LBB27_56:                              ;   in Loop: Header=BB27_3 Depth=1
	s_wait_loadcnt 0x0
	v_cmp_u_f32_e64 s13, v7, v7
	s_wait_kmcnt 0x0
	v_cmp_eq_f32_e64 s11, s48, v7
	v_cmp_gt_i32_e64 s12, s24, v31
	s_delay_alu instid0(VALU_DEP_3) | instskip(SKIP_2) | instid1(SALU_CYCLE_1)
	v_add_co_ci_u32_e64 v18, null, 0, v18, s13
	v_cmp_gt_f32_e64 s13, s48, v7
	s_and_b32 s11, s11, s12
	v_add_co_ci_u32_e64 v20, null, 0, v20, s11
	v_add_co_ci_u32_e64 v19, null, 0, v19, s13
	s_or_b32 exec_lo, exec_lo, s14
	s_and_saveexec_b32 s13, s10
	s_cbranch_execz .LBB27_41
.LBB27_57:                              ;   in Loop: Header=BB27_3 Depth=1
	s_wait_loadcnt 0x0
	v_cmp_u_f32_e64 s12, v8, v8
	s_wait_kmcnt 0x0
	v_cmp_eq_f32_e64 s10, s48, v8
	v_cmp_gt_i32_e64 s11, s24, v30
	s_delay_alu instid0(VALU_DEP_3) | instskip(SKIP_2) | instid1(SALU_CYCLE_1)
	v_add_co_ci_u32_e64 v18, null, 0, v18, s12
	v_cmp_gt_f32_e64 s12, s48, v8
	s_and_b32 s10, s10, s11
	v_add_co_ci_u32_e64 v20, null, 0, v20, s10
	v_add_co_ci_u32_e64 v19, null, 0, v19, s12
	s_or_b32 exec_lo, exec_lo, s13
	s_and_saveexec_b32 s12, s9
	s_cbranch_execz .LBB27_42
.LBB27_58:                              ;   in Loop: Header=BB27_3 Depth=1
	s_wait_loadcnt 0x0
	v_cmp_u_f32_e64 s11, v9, v9
	s_wait_kmcnt 0x0
	v_cmp_eq_f32_e64 s9, s48, v9
	v_cmp_gt_i32_e64 s10, s24, v29
	s_delay_alu instid0(VALU_DEP_3) | instskip(SKIP_2) | instid1(SALU_CYCLE_1)
	v_add_co_ci_u32_e64 v18, null, 0, v18, s11
	v_cmp_gt_f32_e64 s11, s48, v9
	s_and_b32 s9, s9, s10
	v_add_co_ci_u32_e64 v20, null, 0, v20, s9
	v_add_co_ci_u32_e64 v19, null, 0, v19, s11
	s_or_b32 exec_lo, exec_lo, s12
	s_and_saveexec_b32 s11, s8
	s_cbranch_execz .LBB27_43
.LBB27_59:                              ;   in Loop: Header=BB27_3 Depth=1
	s_wait_loadcnt 0x0
	v_cmp_u_f32_e64 s10, v10, v10
	s_wait_kmcnt 0x0
	v_cmp_eq_f32_e64 s8, s48, v10
	v_cmp_gt_i32_e64 s9, s24, v28
	s_delay_alu instid0(VALU_DEP_3) | instskip(SKIP_2) | instid1(SALU_CYCLE_1)
	v_add_co_ci_u32_e64 v18, null, 0, v18, s10
	v_cmp_gt_f32_e64 s10, s48, v10
	s_and_b32 s8, s8, s9
	v_add_co_ci_u32_e64 v20, null, 0, v20, s8
	v_add_co_ci_u32_e64 v19, null, 0, v19, s10
	s_or_b32 exec_lo, exec_lo, s11
	s_and_saveexec_b32 s10, s7
	s_cbranch_execz .LBB27_44
.LBB27_60:                              ;   in Loop: Header=BB27_3 Depth=1
	s_wait_loadcnt 0x0
	v_cmp_u_f32_e64 s9, v11, v11
	s_wait_kmcnt 0x0
	v_cmp_eq_f32_e64 s7, s48, v11
	v_cmp_gt_i32_e64 s8, s24, v27
	s_delay_alu instid0(VALU_DEP_3) | instskip(SKIP_2) | instid1(SALU_CYCLE_1)
	v_add_co_ci_u32_e64 v18, null, 0, v18, s9
	v_cmp_gt_f32_e64 s9, s48, v11
	s_and_b32 s7, s7, s8
	v_add_co_ci_u32_e64 v20, null, 0, v20, s7
	v_add_co_ci_u32_e64 v19, null, 0, v19, s9
	s_or_b32 exec_lo, exec_lo, s10
	s_and_saveexec_b32 s9, s6
	s_cbranch_execz .LBB27_45
.LBB27_61:                              ;   in Loop: Header=BB27_3 Depth=1
	s_wait_loadcnt 0x0
	v_cmp_u_f32_e64 s8, v12, v12
	s_wait_kmcnt 0x0
	v_cmp_eq_f32_e64 s6, s48, v12
	v_cmp_gt_i32_e64 s7, s24, v26
	s_delay_alu instid0(VALU_DEP_3) | instskip(SKIP_2) | instid1(SALU_CYCLE_1)
	v_add_co_ci_u32_e64 v18, null, 0, v18, s8
	v_cmp_gt_f32_e64 s8, s48, v12
	s_and_b32 s6, s6, s7
	v_add_co_ci_u32_e64 v20, null, 0, v20, s6
	v_add_co_ci_u32_e64 v19, null, 0, v19, s8
	s_or_b32 exec_lo, exec_lo, s9
	s_and_saveexec_b32 s8, s5
	s_cbranch_execz .LBB27_46
.LBB27_62:                              ;   in Loop: Header=BB27_3 Depth=1
	s_wait_loadcnt 0x0
	v_cmp_u_f32_e64 s7, v13, v13
	s_wait_kmcnt 0x0
	v_cmp_eq_f32_e64 s5, s48, v13
	v_cmp_gt_i32_e64 s6, s24, v25
	s_delay_alu instid0(VALU_DEP_3) | instskip(SKIP_2) | instid1(SALU_CYCLE_1)
	v_add_co_ci_u32_e64 v18, null, 0, v18, s7
	v_cmp_gt_f32_e64 s7, s48, v13
	s_and_b32 s5, s5, s6
	v_add_co_ci_u32_e64 v20, null, 0, v20, s5
	v_add_co_ci_u32_e64 v19, null, 0, v19, s7
	s_or_b32 exec_lo, exec_lo, s8
	s_and_saveexec_b32 s7, s4
	s_cbranch_execz .LBB27_47
.LBB27_63:                              ;   in Loop: Header=BB27_3 Depth=1
	s_wait_loadcnt 0x0
	v_cmp_u_f32_e64 s6, v14, v14
	s_wait_kmcnt 0x0
	v_cmp_eq_f32_e64 s4, s48, v14
	v_cmp_gt_i32_e64 s5, s24, v24
	s_delay_alu instid0(VALU_DEP_3) | instskip(SKIP_2) | instid1(SALU_CYCLE_1)
	v_add_co_ci_u32_e64 v18, null, 0, v18, s6
	v_cmp_gt_f32_e64 s6, s48, v14
	s_and_b32 s4, s4, s5
	v_add_co_ci_u32_e64 v20, null, 0, v20, s4
	v_add_co_ci_u32_e64 v19, null, 0, v19, s6
	s_or_b32 exec_lo, exec_lo, s7
	s_and_saveexec_b32 s6, s3
	s_cbranch_execz .LBB27_48
.LBB27_64:                              ;   in Loop: Header=BB27_3 Depth=1
	s_wait_loadcnt 0x0
	v_cmp_u_f32_e64 s5, v15, v15
	s_wait_kmcnt 0x0
	v_cmp_eq_f32_e64 s3, s48, v15
	v_cmp_gt_i32_e64 s4, s24, v23
	s_delay_alu instid0(VALU_DEP_3) | instskip(SKIP_2) | instid1(SALU_CYCLE_1)
	v_add_co_ci_u32_e64 v18, null, 0, v18, s5
	v_cmp_gt_f32_e64 s5, s48, v15
	s_and_b32 s3, s3, s4
	v_add_co_ci_u32_e64 v20, null, 0, v20, s3
	v_add_co_ci_u32_e64 v19, null, 0, v19, s5
	s_or_b32 exec_lo, exec_lo, s6
	s_and_saveexec_b32 s5, s2
	s_cbranch_execz .LBB27_49
.LBB27_65:                              ;   in Loop: Header=BB27_3 Depth=1
	s_wait_loadcnt 0x0
	v_cmp_u_f32_e64 s4, v16, v16
	s_wait_kmcnt 0x0
	v_cmp_eq_f32_e64 s2, s48, v16
	v_cmp_gt_i32_e64 s3, s24, v22
	s_delay_alu instid0(VALU_DEP_3) | instskip(SKIP_2) | instid1(SALU_CYCLE_1)
	v_add_co_ci_u32_e64 v18, null, 0, v18, s4
	v_cmp_gt_f32_e64 s4, s48, v16
	s_and_b32 s2, s2, s3
	v_add_co_ci_u32_e64 v20, null, 0, v20, s2
	v_add_co_ci_u32_e64 v19, null, 0, v19, s4
	s_or_b32 exec_lo, exec_lo, s5
	s_and_saveexec_b32 s4, vcc_lo
	s_cbranch_execz .LBB27_2
.LBB27_66:                              ;   in Loop: Header=BB27_3 Depth=1
	s_wait_loadcnt 0x0
	v_cmp_u_f32_e64 s3, v17, v17
	s_wait_kmcnt 0x0
	v_cmp_eq_f32_e32 vcc_lo, s48, v17
	v_cmp_gt_i32_e64 s2, s24, v21
	s_delay_alu instid0(VALU_DEP_3) | instskip(SKIP_2) | instid1(SALU_CYCLE_1)
	v_add_co_ci_u32_e64 v18, null, 0, v18, s3
	v_cmp_gt_f32_e64 s3, s48, v17
	s_and_b32 vcc_lo, vcc_lo, s2
	v_add_co_ci_u32_e64 v20, null, 0, v20, vcc_lo
	v_add_co_ci_u32_e64 v19, null, 0, v19, s3
	s_branch .LBB27_2
.LBB27_67:
	v_mov_b32_e32 v20, 0
	s_delay_alu instid0(VALU_DEP_1)
	v_dual_mov_b32 v21, v20 :: v_dual_mov_b32 v22, v20
	v_dual_mov_b32 v23, v20 :: v_dual_mov_b32 v24, v20
	;; [unrolled: 1-line block ×7, first 2 shown]
	v_mov_b32_e32 v35, v20
	v_mov_b64_e32 v[2:3], v[20:21]
	v_mov_b64_e32 v[4:5], v[22:23]
	;; [unrolled: 1-line block ×8, first 2 shown]
	v_lshlrev_b32_e32 v1, 2, v0
	s_cmp_lt_u32 s33, 2
	ds_store_b32 v1, v20
	s_cbranch_scc0 .LBB27_69
	s_branch .LBB27_73
.LBB27_68:
	v_add_nc_u32_e32 v20, v19, v20
	v_cmp_eq_u32_e64 s2, 0, v18
	v_lshlrev_b32_e32 v1, 2, v0
	s_cmp_lt_u32 s33, 2
	ds_store_b32 v1, v20
	s_cbranch_scc1 .LBB27_73
.LBB27_69:
	s_mov_b32 s3, s33
	s_branch .LBB27_71
.LBB27_70:                              ;   in Loop: Header=BB27_71 Depth=1
	s_or_b32 exec_lo, exec_lo, s5
	s_cmp_lt_u32 s3, 4
	s_mov_b32 s3, s4
	s_cbranch_scc1 .LBB27_73
.LBB27_71:                              ; =>This Inner Loop Header: Depth=1
	s_lshr_b32 s4, s3, 1
	s_mov_b32 s5, exec_lo
	s_wait_loadcnt_dscnt 0x0
	s_barrier_signal -1
	s_barrier_wait -1
	v_cmpx_gt_u32_e64 s4, v0
	s_cbranch_execz .LBB27_70
; %bb.72:                               ;   in Loop: Header=BB27_71 Depth=1
	v_lshl_add_u32 v18, s4, 2, v1
	ds_load_b32 v18, v18
	s_wait_dscnt 0x0
	v_add_nc_u32_e32 v20, v18, v20
	ds_store_b32 v1, v20
	s_branch .LBB27_70
.LBB27_73:
	v_mov_b32_e32 v1, 0
	s_wait_loadcnt_dscnt 0x0
	s_barrier_signal -1
	s_barrier_wait -1
	ds_load_b32 v1, v1
	s_mul_u64 s[4:5], s[22:23], s[26:27]
	s_delay_alu instid0(SALU_CYCLE_1)
	s_lshl_b64 s[6:7], s[4:5], 2
	s_xor_b32 s4, s2, -1
	s_add_nc_u64 s[2:3], s[20:21], s[6:7]
	s_mov_b32 s5, exec_lo
	v_cmpx_eq_u32_e32 0, v0
	s_cbranch_execnz .LBB27_76
; %bb.74:
	s_or_b32 exec_lo, exec_lo, s5
	s_and_saveexec_b32 s5, s4
	s_cbranch_execnz .LBB27_77
.LBB27_75:
	s_or_b32 exec_lo, exec_lo, s5
	s_delay_alu instid0(SALU_CYCLE_1)
	s_and_not1_b32 vcc_lo, exec_lo, s49
	s_cbranch_vccz .LBB27_78
	s_branch .LBB27_144
.LBB27_76:
	s_wait_kmcnt 0x0
	v_mov_b32_e32 v18, s48
	s_wait_dscnt 0x0
	global_store_b32 v1, v18, s[2:3] scale_offset
	s_wait_xcnt 0x0
	s_or_b32 exec_lo, exec_lo, s5
	s_and_saveexec_b32 s5, s4
	s_cbranch_execz .LBB27_75
.LBB27_77:
	v_dual_mov_b32 v18, 0 :: v_dual_mov_b32 v19, 0x7fc00000
	s_add_nc_u64 s[2:3], s[2:3], s[30:31]
	global_store_b32 v18, v19, s[2:3]
	s_wait_xcnt 0x0
	s_or_b32 exec_lo, exec_lo, s5
	s_delay_alu instid0(SALU_CYCLE_1)
	s_and_not1_b32 vcc_lo, exec_lo, s49
	s_cbranch_vccnz .LBB27_144
.LBB27_78:
	s_clause 0x1
	s_load_b256 s[4:11], s[0:1], 0x38
	s_load_b64 s[2:3], s[0:1], 0x30
	s_add_co_i32 s15, s47, 1
	s_lshl_b32 s18, s33, 1
	s_lshl_b32 s20, s33, 2
	;; [unrolled: 1-line block ×3, first 2 shown]
	s_wait_dscnt 0x0
	s_wait_kmcnt 0x0
	v_mul_lo_u32 v18, v1, s9
	s_mul_u64 s[0:1], s[4:5], s[26:27]
	s_ashr_i32 s5, s2, 31
	s_lshl_b64 s[0:1], s[0:1], 2
	s_mov_b32 s4, s2
	s_add_nc_u64 s[0:1], s[28:29], s[0:1]
	s_lshl_b64 s[4:5], s[4:5], 2
	s_mul_u64 s[10:11], s[10:11], s[26:27]
	s_add_nc_u64 s[0:1], s[0:1], s[4:5]
	s_ashr_i32 s5, s8, 31
	s_mov_b32 s4, s8
	v_ashrrev_i32_e32 v19, 31, v18
	s_lshl_b64 s[8:9], s[10:11], 2
	s_lshl_b64 s[4:5], s[4:5], 2
	s_add_nc_u64 s[6:7], s[6:7], s[8:9]
	s_mul_i32 s2, s3, s24
	v_lshlrev_b64_e32 v[18:19], 2, v[18:19]
	s_add_nc_u64 s[4:5], s[6:7], s[4:5]
	s_ashr_i32 s3, s2, 31
	s_delay_alu instid0(SALU_CYCLE_1) | instskip(NEXT) | instid1(SALU_CYCLE_1)
	s_lshl_b64 s[2:3], s[2:3], 2
	s_add_nc_u64 s[16:17], s[0:1], s[2:3]
	s_delay_alu instid0(VALU_DEP_1)
	v_add_nc_u64_e32 v[18:19], s[4:5], v[18:19]
	s_branch .LBB27_80
.LBB27_79:                              ;   in Loop: Header=BB27_80 Depth=1
	s_wait_xcnt 0x0
	s_or_b32 exec_lo, exec_lo, s0
	v_add_nc_u32_e32 v0, s37, v0
	s_add_co_i32 s15, s15, -1
	s_delay_alu instid0(SALU_CYCLE_1)
	s_cmp_eq_u32 s15, 0
	s_cbranch_scc1 .LBB27_144
.LBB27_80:                              ; =>This Inner Loop Header: Depth=1
	s_delay_alu instid0(VALU_DEP_1)
	v_cmp_gt_i32_e32 vcc_lo, s36, v0
	s_and_saveexec_b32 s0, vcc_lo
	s_cbranch_execz .LBB27_82
; %bb.81:                               ;   in Loop: Header=BB27_80 Depth=1
	s_wait_loadcnt 0x0
	global_load_b32 v2, v0, s[16:17] scale_offset
.LBB27_82:                              ;   in Loop: Header=BB27_80 Depth=1
	s_wait_xcnt 0x0
	s_or_b32 exec_lo, exec_lo, s0
	v_add_nc_u32_e32 v1, s33, v0
	s_delay_alu instid0(VALU_DEP_1)
	v_cmp_gt_i32_e64 s0, s36, v1
	s_and_saveexec_b32 s1, s0
	s_cbranch_execz .LBB27_84
; %bb.83:                               ;   in Loop: Header=BB27_80 Depth=1
	s_wait_loadcnt 0x0
	global_load_b32 v3, v1, s[16:17] scale_offset
.LBB27_84:                              ;   in Loop: Header=BB27_80 Depth=1
	s_wait_xcnt 0x0
	s_or_b32 exec_lo, exec_lo, s1
	v_dual_add_nc_u32 v21, s33, v1 :: v_dual_add_nc_u32 v20, s18, v0
	s_delay_alu instid0(VALU_DEP_1)
	v_cmp_gt_i32_e64 s1, s36, v21
	s_and_saveexec_b32 s2, s1
	s_cbranch_execz .LBB27_86
; %bb.85:                               ;   in Loop: Header=BB27_80 Depth=1
	s_wait_loadcnt 0x0
	global_load_b32 v4, v20, s[16:17] scale_offset
.LBB27_86:                              ;   in Loop: Header=BB27_80 Depth=1
	s_wait_xcnt 0x0
	s_or_b32 exec_lo, exec_lo, s2
	v_dual_add_nc_u32 v22, s33, v21 :: v_dual_add_nc_u32 v21, s19, v0
	s_delay_alu instid0(VALU_DEP_1)
	v_cmp_gt_i32_e64 s2, s36, v22
	s_and_saveexec_b32 s3, s2
	s_cbranch_execz .LBB27_88
; %bb.87:                               ;   in Loop: Header=BB27_80 Depth=1
	s_wait_loadcnt 0x0
	global_load_b32 v5, v21, s[16:17] scale_offset
.LBB27_88:                              ;   in Loop: Header=BB27_80 Depth=1
	s_wait_xcnt 0x0
	s_or_b32 exec_lo, exec_lo, s3
	v_dual_add_nc_u32 v23, s33, v22 :: v_dual_add_nc_u32 v22, s20, v0
	s_delay_alu instid0(VALU_DEP_1)
	v_cmp_gt_i32_e64 s3, s36, v23
	s_and_saveexec_b32 s4, s3
	s_cbranch_execz .LBB27_90
; %bb.89:                               ;   in Loop: Header=BB27_80 Depth=1
	s_wait_loadcnt 0x0
	global_load_b32 v6, v22, s[16:17] scale_offset
.LBB27_90:                              ;   in Loop: Header=BB27_80 Depth=1
	s_wait_xcnt 0x0
	s_or_b32 exec_lo, exec_lo, s4
	v_dual_add_nc_u32 v24, s33, v23 :: v_dual_add_nc_u32 v23, s25, v0
	s_delay_alu instid0(VALU_DEP_1)
	v_cmp_gt_i32_e64 s4, s36, v24
	s_and_saveexec_b32 s5, s4
	s_cbranch_execz .LBB27_92
; %bb.91:                               ;   in Loop: Header=BB27_80 Depth=1
	s_wait_loadcnt 0x0
	global_load_b32 v7, v23, s[16:17] scale_offset
.LBB27_92:                              ;   in Loop: Header=BB27_80 Depth=1
	s_wait_xcnt 0x0
	s_or_b32 exec_lo, exec_lo, s5
	v_add_nc_u32_e32 v25, s33, v24
	v_add_nc_u32_e32 v24, s38, v0
	s_delay_alu instid0(VALU_DEP_2)
	v_cmp_gt_i32_e64 s5, s36, v25
	s_and_saveexec_b32 s6, s5
	s_cbranch_execz .LBB27_94
; %bb.93:                               ;   in Loop: Header=BB27_80 Depth=1
	s_wait_loadcnt 0x0
	global_load_b32 v8, v24, s[16:17] scale_offset
.LBB27_94:                              ;   in Loop: Header=BB27_80 Depth=1
	s_wait_xcnt 0x0
	s_or_b32 exec_lo, exec_lo, s6
	v_dual_add_nc_u32 v26, s33, v25 :: v_dual_add_nc_u32 v25, s39, v0
	s_delay_alu instid0(VALU_DEP_1)
	v_cmp_gt_i32_e64 s6, s36, v26
	s_and_saveexec_b32 s7, s6
	s_cbranch_execz .LBB27_96
; %bb.95:                               ;   in Loop: Header=BB27_80 Depth=1
	s_wait_loadcnt 0x0
	global_load_b32 v9, v25, s[16:17] scale_offset
.LBB27_96:                              ;   in Loop: Header=BB27_80 Depth=1
	s_wait_xcnt 0x0
	s_or_b32 exec_lo, exec_lo, s7
	v_dual_add_nc_u32 v27, s33, v26 :: v_dual_add_nc_u32 v26, s21, v0
	s_delay_alu instid0(VALU_DEP_1)
	;; [unrolled: 11-line block ×3, first 2 shown]
	v_cmp_gt_i32_e64 s8, s36, v28
	s_and_saveexec_b32 s9, s8
	s_cbranch_execz .LBB27_100
; %bb.99:                               ;   in Loop: Header=BB27_80 Depth=1
	s_wait_loadcnt 0x0
	global_load_b32 v11, v27, s[16:17] scale_offset
.LBB27_100:                             ;   in Loop: Header=BB27_80 Depth=1
	s_wait_xcnt 0x0
	s_or_b32 exec_lo, exec_lo, s9
	v_add_nc_u32_e32 v29, s33, v28
	v_add_nc_u32_e32 v28, s41, v0
	s_delay_alu instid0(VALU_DEP_2)
	v_cmp_gt_i32_e64 s9, s36, v29
	s_and_saveexec_b32 s10, s9
	s_cbranch_execz .LBB27_102
; %bb.101:                              ;   in Loop: Header=BB27_80 Depth=1
	s_wait_loadcnt 0x0
	global_load_b32 v12, v28, s[16:17] scale_offset
.LBB27_102:                             ;   in Loop: Header=BB27_80 Depth=1
	s_wait_xcnt 0x0
	s_or_b32 exec_lo, exec_lo, s10
	v_dual_add_nc_u32 v30, s33, v29 :: v_dual_add_nc_u32 v29, s42, v0
	s_delay_alu instid0(VALU_DEP_1)
	v_cmp_gt_i32_e64 s10, s36, v30
	s_and_saveexec_b32 s11, s10
	s_cbranch_execz .LBB27_104
; %bb.103:                              ;   in Loop: Header=BB27_80 Depth=1
	s_wait_loadcnt 0x0
	global_load_b32 v13, v29, s[16:17] scale_offset
.LBB27_104:                             ;   in Loop: Header=BB27_80 Depth=1
	s_wait_xcnt 0x0
	s_or_b32 exec_lo, exec_lo, s11
	v_dual_add_nc_u32 v31, s33, v30 :: v_dual_add_nc_u32 v30, s43, v0
	s_delay_alu instid0(VALU_DEP_1)
	;; [unrolled: 11-line block ×3, first 2 shown]
	v_cmp_gt_i32_e64 s12, s36, v32
	s_and_saveexec_b32 s13, s12
	s_cbranch_execz .LBB27_108
; %bb.107:                              ;   in Loop: Header=BB27_80 Depth=1
	s_wait_loadcnt 0x0
	global_load_b32 v15, v31, s[16:17] scale_offset
.LBB27_108:                             ;   in Loop: Header=BB27_80 Depth=1
	s_wait_xcnt 0x0
	s_or_b32 exec_lo, exec_lo, s13
	v_add_nc_u32_e32 v33, s33, v32
	v_add_nc_u32_e32 v32, s45, v0
	s_delay_alu instid0(VALU_DEP_2)
	v_cmp_gt_i32_e64 s13, s36, v33
	s_and_saveexec_b32 s14, s13
	s_cbranch_execz .LBB27_110
; %bb.109:                              ;   in Loop: Header=BB27_80 Depth=1
	s_wait_loadcnt 0x0
	global_load_b32 v16, v32, s[16:17] scale_offset
.LBB27_110:                             ;   in Loop: Header=BB27_80 Depth=1
	s_wait_xcnt 0x0
	s_or_b32 exec_lo, exec_lo, s14
	v_dual_add_nc_u32 v34, s33, v33 :: v_dual_add_nc_u32 v33, s46, v0
	s_delay_alu instid0(VALU_DEP_1)
	v_cmp_gt_i32_e64 s14, s36, v34
	s_and_saveexec_b32 s22, s14
	s_cbranch_execnz .LBB27_127
; %bb.111:                              ;   in Loop: Header=BB27_80 Depth=1
	s_or_b32 exec_lo, exec_lo, s22
	s_and_saveexec_b32 s22, vcc_lo
	s_cbranch_execnz .LBB27_128
.LBB27_112:                             ;   in Loop: Header=BB27_80 Depth=1
	s_or_b32 exec_lo, exec_lo, s22
	s_and_saveexec_b32 s22, s0
	s_cbranch_execnz .LBB27_129
.LBB27_113:                             ;   in Loop: Header=BB27_80 Depth=1
	s_or_b32 exec_lo, exec_lo, s22
	s_and_saveexec_b32 s0, s1
	s_cbranch_execnz .LBB27_130
.LBB27_114:                             ;   in Loop: Header=BB27_80 Depth=1
	s_or_b32 exec_lo, exec_lo, s0
	s_and_saveexec_b32 s0, s2
	s_cbranch_execnz .LBB27_131
.LBB27_115:                             ;   in Loop: Header=BB27_80 Depth=1
	s_or_b32 exec_lo, exec_lo, s0
	s_and_saveexec_b32 s0, s3
	s_cbranch_execnz .LBB27_132
.LBB27_116:                             ;   in Loop: Header=BB27_80 Depth=1
	s_or_b32 exec_lo, exec_lo, s0
	s_and_saveexec_b32 s0, s4
	s_cbranch_execnz .LBB27_133
.LBB27_117:                             ;   in Loop: Header=BB27_80 Depth=1
	s_or_b32 exec_lo, exec_lo, s0
	s_and_saveexec_b32 s0, s5
	s_cbranch_execnz .LBB27_134
.LBB27_118:                             ;   in Loop: Header=BB27_80 Depth=1
	s_or_b32 exec_lo, exec_lo, s0
	s_and_saveexec_b32 s0, s6
	s_cbranch_execnz .LBB27_135
.LBB27_119:                             ;   in Loop: Header=BB27_80 Depth=1
	s_or_b32 exec_lo, exec_lo, s0
	s_and_saveexec_b32 s0, s7
	s_cbranch_execnz .LBB27_136
.LBB27_120:                             ;   in Loop: Header=BB27_80 Depth=1
	s_or_b32 exec_lo, exec_lo, s0
	s_and_saveexec_b32 s0, s8
	s_cbranch_execnz .LBB27_137
.LBB27_121:                             ;   in Loop: Header=BB27_80 Depth=1
	s_or_b32 exec_lo, exec_lo, s0
	s_and_saveexec_b32 s0, s9
	s_cbranch_execnz .LBB27_138
.LBB27_122:                             ;   in Loop: Header=BB27_80 Depth=1
	s_or_b32 exec_lo, exec_lo, s0
	s_and_saveexec_b32 s0, s10
	s_cbranch_execnz .LBB27_139
.LBB27_123:                             ;   in Loop: Header=BB27_80 Depth=1
	s_or_b32 exec_lo, exec_lo, s0
	s_and_saveexec_b32 s0, s11
	s_cbranch_execnz .LBB27_140
.LBB27_124:                             ;   in Loop: Header=BB27_80 Depth=1
	s_or_b32 exec_lo, exec_lo, s0
	s_and_saveexec_b32 s0, s12
	s_cbranch_execnz .LBB27_141
.LBB27_125:                             ;   in Loop: Header=BB27_80 Depth=1
	s_or_b32 exec_lo, exec_lo, s0
	s_and_saveexec_b32 s0, s13
	s_cbranch_execnz .LBB27_142
.LBB27_126:                             ;   in Loop: Header=BB27_80 Depth=1
	s_or_b32 exec_lo, exec_lo, s0
	s_and_saveexec_b32 s0, s14
	s_cbranch_execz .LBB27_79
	s_branch .LBB27_143
.LBB27_127:                             ;   in Loop: Header=BB27_80 Depth=1
	s_wait_loadcnt 0x0
	global_load_b32 v17, v33, s[16:17] scale_offset
	s_wait_xcnt 0x0
	s_or_b32 exec_lo, exec_lo, s22
	s_and_saveexec_b32 s22, vcc_lo
	s_cbranch_execz .LBB27_112
.LBB27_128:                             ;   in Loop: Header=BB27_80 Depth=1
	v_readfirstlane_b32 s26, v18
	v_readfirstlane_b32 s27, v19
	s_wait_loadcnt 0x0
	global_store_b32 v0, v2, s[26:27] scale_offset
	s_wait_xcnt 0x0
	s_or_b32 exec_lo, exec_lo, s22
	s_and_saveexec_b32 s22, s0
	s_cbranch_execz .LBB27_113
.LBB27_129:                             ;   in Loop: Header=BB27_80 Depth=1
	v_readfirstlane_b32 s26, v18
	v_readfirstlane_b32 s27, v19
	s_wait_loadcnt 0x0
	global_store_b32 v1, v3, s[26:27] scale_offset
	s_wait_xcnt 0x0
	s_or_b32 exec_lo, exec_lo, s22
	s_and_saveexec_b32 s0, s1
	s_cbranch_execz .LBB27_114
.LBB27_130:                             ;   in Loop: Header=BB27_80 Depth=1
	v_readfirstlane_b32 s22, v18
	v_readfirstlane_b32 s23, v19
	s_wait_loadcnt 0x0
	global_store_b32 v20, v4, s[22:23] scale_offset
	s_wait_xcnt 0x0
	s_or_b32 exec_lo, exec_lo, s0
	s_and_saveexec_b32 s0, s2
	s_cbranch_execz .LBB27_115
.LBB27_131:                             ;   in Loop: Header=BB27_80 Depth=1
	v_readfirstlane_b32 s22, v18
	v_readfirstlane_b32 s23, v19
	s_wait_loadcnt 0x0
	global_store_b32 v21, v5, s[22:23] scale_offset
	s_wait_xcnt 0x0
	s_or_b32 exec_lo, exec_lo, s0
	s_and_saveexec_b32 s0, s3
	s_cbranch_execz .LBB27_116
.LBB27_132:                             ;   in Loop: Header=BB27_80 Depth=1
	v_readfirstlane_b32 s2, v18
	v_readfirstlane_b32 s3, v19
	s_wait_loadcnt 0x0
	global_store_b32 v22, v6, s[2:3] scale_offset
	s_wait_xcnt 0x0
	s_or_b32 exec_lo, exec_lo, s0
	s_and_saveexec_b32 s0, s4
	s_cbranch_execz .LBB27_117
.LBB27_133:                             ;   in Loop: Header=BB27_80 Depth=1
	v_readfirstlane_b32 s2, v18
	v_readfirstlane_b32 s3, v19
	s_wait_loadcnt 0x0
	global_store_b32 v23, v7, s[2:3] scale_offset
	s_wait_xcnt 0x0
	s_or_b32 exec_lo, exec_lo, s0
	s_and_saveexec_b32 s0, s5
	s_cbranch_execz .LBB27_118
.LBB27_134:                             ;   in Loop: Header=BB27_80 Depth=1
	v_readfirstlane_b32 s2, v18
	v_readfirstlane_b32 s3, v19
	s_wait_loadcnt 0x0
	global_store_b32 v24, v8, s[2:3] scale_offset
	s_wait_xcnt 0x0
	s_or_b32 exec_lo, exec_lo, s0
	s_and_saveexec_b32 s0, s6
	s_cbranch_execz .LBB27_119
.LBB27_135:                             ;   in Loop: Header=BB27_80 Depth=1
	v_readfirstlane_b32 s2, v18
	v_readfirstlane_b32 s3, v19
	s_wait_loadcnt 0x0
	global_store_b32 v25, v9, s[2:3] scale_offset
	s_wait_xcnt 0x0
	s_or_b32 exec_lo, exec_lo, s0
	s_and_saveexec_b32 s0, s7
	s_cbranch_execz .LBB27_120
.LBB27_136:                             ;   in Loop: Header=BB27_80 Depth=1
	v_readfirstlane_b32 s2, v18
	v_readfirstlane_b32 s3, v19
	s_wait_loadcnt 0x0
	global_store_b32 v26, v10, s[2:3] scale_offset
	s_wait_xcnt 0x0
	s_or_b32 exec_lo, exec_lo, s0
	s_and_saveexec_b32 s0, s8
	s_cbranch_execz .LBB27_121
.LBB27_137:                             ;   in Loop: Header=BB27_80 Depth=1
	v_readfirstlane_b32 s2, v18
	v_readfirstlane_b32 s3, v19
	s_wait_loadcnt 0x0
	global_store_b32 v27, v11, s[2:3] scale_offset
	s_wait_xcnt 0x0
	s_or_b32 exec_lo, exec_lo, s0
	s_and_saveexec_b32 s0, s9
	s_cbranch_execz .LBB27_122
.LBB27_138:                             ;   in Loop: Header=BB27_80 Depth=1
	v_readfirstlane_b32 s2, v18
	v_readfirstlane_b32 s3, v19
	s_wait_loadcnt 0x0
	global_store_b32 v28, v12, s[2:3] scale_offset
	s_wait_xcnt 0x0
	s_or_b32 exec_lo, exec_lo, s0
	s_and_saveexec_b32 s0, s10
	s_cbranch_execz .LBB27_123
.LBB27_139:                             ;   in Loop: Header=BB27_80 Depth=1
	v_readfirstlane_b32 s2, v18
	v_readfirstlane_b32 s3, v19
	s_wait_loadcnt 0x0
	global_store_b32 v29, v13, s[2:3] scale_offset
	s_wait_xcnt 0x0
	s_or_b32 exec_lo, exec_lo, s0
	s_and_saveexec_b32 s0, s11
	s_cbranch_execz .LBB27_124
.LBB27_140:                             ;   in Loop: Header=BB27_80 Depth=1
	v_readfirstlane_b32 s2, v18
	v_readfirstlane_b32 s3, v19
	s_wait_loadcnt 0x0
	global_store_b32 v30, v14, s[2:3] scale_offset
	s_wait_xcnt 0x0
	s_or_b32 exec_lo, exec_lo, s0
	s_and_saveexec_b32 s0, s12
	s_cbranch_execz .LBB27_125
.LBB27_141:                             ;   in Loop: Header=BB27_80 Depth=1
	v_readfirstlane_b32 s2, v18
	v_readfirstlane_b32 s3, v19
	s_wait_loadcnt 0x0
	global_store_b32 v31, v15, s[2:3] scale_offset
	s_wait_xcnt 0x0
	s_or_b32 exec_lo, exec_lo, s0
	s_and_saveexec_b32 s0, s13
	s_cbranch_execz .LBB27_126
.LBB27_142:                             ;   in Loop: Header=BB27_80 Depth=1
	v_readfirstlane_b32 s2, v18
	v_readfirstlane_b32 s3, v19
	s_wait_loadcnt 0x0
	global_store_b32 v32, v16, s[2:3] scale_offset
	s_wait_xcnt 0x0
	s_or_b32 exec_lo, exec_lo, s0
	s_and_saveexec_b32 s0, s14
	s_cbranch_execz .LBB27_79
.LBB27_143:                             ;   in Loop: Header=BB27_80 Depth=1
	v_readfirstlane_b32 s2, v18
	v_readfirstlane_b32 s3, v19
	s_wait_loadcnt 0x0
	global_store_b32 v33, v17, s[2:3] scale_offset
	s_branch .LBB27_79
.LBB27_144:
	s_endpgm
	.section	.rodata,"a",@progbits
	.p2align	6, 0x0
	.amdhsa_kernel _ZN9rocsolver6v33100L10stedc_sortIffPfS2_EEviPT0_lS4_lT1_iilT2_iil
		.amdhsa_group_segment_fixed_size 2048
		.amdhsa_private_segment_fixed_size 0
		.amdhsa_kernarg_size 344
		.amdhsa_user_sgpr_count 2
		.amdhsa_user_sgpr_dispatch_ptr 0
		.amdhsa_user_sgpr_queue_ptr 0
		.amdhsa_user_sgpr_kernarg_segment_ptr 1
		.amdhsa_user_sgpr_dispatch_id 0
		.amdhsa_user_sgpr_kernarg_preload_length 0
		.amdhsa_user_sgpr_kernarg_preload_offset 0
		.amdhsa_user_sgpr_private_segment_size 0
		.amdhsa_wavefront_size32 1
		.amdhsa_uses_dynamic_stack 0
		.amdhsa_enable_private_segment 0
		.amdhsa_system_sgpr_workgroup_id_x 1
		.amdhsa_system_sgpr_workgroup_id_y 1
		.amdhsa_system_sgpr_workgroup_id_z 0
		.amdhsa_system_sgpr_workgroup_info 0
		.amdhsa_system_vgpr_workitem_id 0
		.amdhsa_next_free_vgpr 36
		.amdhsa_next_free_sgpr 55
		.amdhsa_named_barrier_count 0
		.amdhsa_reserve_vcc 1
		.amdhsa_float_round_mode_32 0
		.amdhsa_float_round_mode_16_64 0
		.amdhsa_float_denorm_mode_32 3
		.amdhsa_float_denorm_mode_16_64 3
		.amdhsa_fp16_overflow 0
		.amdhsa_memory_ordered 1
		.amdhsa_forward_progress 1
		.amdhsa_inst_pref_size 40
		.amdhsa_round_robin_scheduling 0
		.amdhsa_exception_fp_ieee_invalid_op 0
		.amdhsa_exception_fp_denorm_src 0
		.amdhsa_exception_fp_ieee_div_zero 0
		.amdhsa_exception_fp_ieee_overflow 0
		.amdhsa_exception_fp_ieee_underflow 0
		.amdhsa_exception_fp_ieee_inexact 0
		.amdhsa_exception_int_div_zero 0
	.end_amdhsa_kernel
	.section	.text._ZN9rocsolver6v33100L10stedc_sortIffPfS2_EEviPT0_lS4_lT1_iilT2_iil,"axG",@progbits,_ZN9rocsolver6v33100L10stedc_sortIffPfS2_EEviPT0_lS4_lT1_iilT2_iil,comdat
.Lfunc_end27:
	.size	_ZN9rocsolver6v33100L10stedc_sortIffPfS2_EEviPT0_lS4_lT1_iilT2_iil, .Lfunc_end27-_ZN9rocsolver6v33100L10stedc_sortIffPfS2_EEviPT0_lS4_lT1_iilT2_iil
                                        ; -- End function
	.set _ZN9rocsolver6v33100L10stedc_sortIffPfS2_EEviPT0_lS4_lT1_iilT2_iil.num_vgpr, 36
	.set _ZN9rocsolver6v33100L10stedc_sortIffPfS2_EEviPT0_lS4_lT1_iilT2_iil.num_agpr, 0
	.set _ZN9rocsolver6v33100L10stedc_sortIffPfS2_EEviPT0_lS4_lT1_iilT2_iil.numbered_sgpr, 55
	.set _ZN9rocsolver6v33100L10stedc_sortIffPfS2_EEviPT0_lS4_lT1_iilT2_iil.num_named_barrier, 0
	.set _ZN9rocsolver6v33100L10stedc_sortIffPfS2_EEviPT0_lS4_lT1_iilT2_iil.private_seg_size, 0
	.set _ZN9rocsolver6v33100L10stedc_sortIffPfS2_EEviPT0_lS4_lT1_iilT2_iil.uses_vcc, 1
	.set _ZN9rocsolver6v33100L10stedc_sortIffPfS2_EEviPT0_lS4_lT1_iilT2_iil.uses_flat_scratch, 0
	.set _ZN9rocsolver6v33100L10stedc_sortIffPfS2_EEviPT0_lS4_lT1_iilT2_iil.has_dyn_sized_stack, 0
	.set _ZN9rocsolver6v33100L10stedc_sortIffPfS2_EEviPT0_lS4_lT1_iilT2_iil.has_recursion, 0
	.set _ZN9rocsolver6v33100L10stedc_sortIffPfS2_EEviPT0_lS4_lT1_iilT2_iil.has_indirect_call, 0
	.section	.AMDGPU.csdata,"",@progbits
; Kernel info:
; codeLenInByte = 5088
; TotalNumSgprs: 57
; NumVgprs: 36
; ScratchSize: 0
; MemoryBound: 0
; FloatMode: 240
; IeeeMode: 1
; LDSByteSize: 2048 bytes/workgroup (compile time only)
; SGPRBlocks: 0
; VGPRBlocks: 2
; NumSGPRsForWavesPerEU: 57
; NumVGPRsForWavesPerEU: 36
; NamedBarCnt: 0
; Occupancy: 16
; WaveLimiterHint : 0
; COMPUTE_PGM_RSRC2:SCRATCH_EN: 0
; COMPUTE_PGM_RSRC2:USER_SGPR: 2
; COMPUTE_PGM_RSRC2:TRAP_HANDLER: 0
; COMPUTE_PGM_RSRC2:TGID_X_EN: 1
; COMPUTE_PGM_RSRC2:TGID_Y_EN: 1
; COMPUTE_PGM_RSRC2:TGID_Z_EN: 0
; COMPUTE_PGM_RSRC2:TIDIG_COMP_CNT: 0
	.section	.text._ZN9rocsolver6v33100L16reset_batch_infoIdiiPdEEvT2_lT0_T1_,"axG",@progbits,_ZN9rocsolver6v33100L16reset_batch_infoIdiiPdEEvT2_lT0_T1_,comdat
	.globl	_ZN9rocsolver6v33100L16reset_batch_infoIdiiPdEEvT2_lT0_T1_ ; -- Begin function _ZN9rocsolver6v33100L16reset_batch_infoIdiiPdEEvT2_lT0_T1_
	.p2align	8
	.type	_ZN9rocsolver6v33100L16reset_batch_infoIdiiPdEEvT2_lT0_T1_,@function
_ZN9rocsolver6v33100L16reset_batch_infoIdiiPdEEvT2_lT0_T1_: ; @_ZN9rocsolver6v33100L16reset_batch_infoIdiiPdEEvT2_lT0_T1_
; %bb.0:
	s_clause 0x1
	s_load_b32 s5, s[0:1], 0x24
	s_load_b64 s[2:3], s[0:1], 0x10
	s_bfe_u32 s4, ttmp6, 0x4000c
	s_and_b32 s6, ttmp6, 15
	s_add_co_i32 s7, s4, 1
	s_getreg_b32 s4, hwreg(HW_REG_IB_STS2, 6, 4)
	s_mul_i32 s7, ttmp9, s7
	s_delay_alu instid0(SALU_CYCLE_1) | instskip(SKIP_4) | instid1(SALU_CYCLE_1)
	s_add_co_i32 s6, s6, s7
	s_wait_kmcnt 0x0
	s_and_b32 s5, s5, 0xffff
	s_cmp_eq_u32 s4, 0
	s_cselect_b32 s6, ttmp9, s6
	v_mad_u32 v0, s6, s5, v0
	s_delay_alu instid0(VALU_DEP_1)
	v_cmp_gt_i32_e32 vcc_lo, s2, v0
	s_and_saveexec_b32 s2, vcc_lo
	s_cbranch_execz .LBB28_2
; %bb.1:
	v_cvt_f64_i32_e32 v[2:3], s3
	s_load_b128 s[0:3], s[0:1], 0x0
	s_bfe_u32 s5, ttmp6, 0x40010
	s_bfe_u32 s6, ttmp6, 0x40004
	s_add_co_i32 s5, s5, 1
	s_delay_alu instid0(SALU_CYCLE_1) | instskip(NEXT) | instid1(SALU_CYCLE_1)
	s_mul_i32 s5, ttmp7, s5
	s_add_co_i32 s6, s6, s5
	s_cmp_eq_u32 s4, 0
	s_cselect_b32 s4, ttmp7, s6
	s_delay_alu instid0(SALU_CYCLE_1) | instskip(SKIP_2) | instid1(SALU_CYCLE_1)
	s_ashr_i32 s5, s4, 31
	s_wait_kmcnt 0x0
	s_mul_u64 s[2:3], s[2:3], s[4:5]
	s_lshl_b64 s[2:3], s[2:3], 3
	s_delay_alu instid0(SALU_CYCLE_1)
	s_add_nc_u64 s[0:1], s[0:1], s[2:3]
	global_store_b64 v0, v[2:3], s[0:1] scale_offset
.LBB28_2:
	s_endpgm
	.section	.rodata,"a",@progbits
	.p2align	6, 0x0
	.amdhsa_kernel _ZN9rocsolver6v33100L16reset_batch_infoIdiiPdEEvT2_lT0_T1_
		.amdhsa_group_segment_fixed_size 0
		.amdhsa_private_segment_fixed_size 0
		.amdhsa_kernarg_size 280
		.amdhsa_user_sgpr_count 2
		.amdhsa_user_sgpr_dispatch_ptr 0
		.amdhsa_user_sgpr_queue_ptr 0
		.amdhsa_user_sgpr_kernarg_segment_ptr 1
		.amdhsa_user_sgpr_dispatch_id 0
		.amdhsa_user_sgpr_kernarg_preload_length 0
		.amdhsa_user_sgpr_kernarg_preload_offset 0
		.amdhsa_user_sgpr_private_segment_size 0
		.amdhsa_wavefront_size32 1
		.amdhsa_uses_dynamic_stack 0
		.amdhsa_enable_private_segment 0
		.amdhsa_system_sgpr_workgroup_id_x 1
		.amdhsa_system_sgpr_workgroup_id_y 1
		.amdhsa_system_sgpr_workgroup_id_z 0
		.amdhsa_system_sgpr_workgroup_info 0
		.amdhsa_system_vgpr_workitem_id 0
		.amdhsa_next_free_vgpr 4
		.amdhsa_next_free_sgpr 8
		.amdhsa_named_barrier_count 0
		.amdhsa_reserve_vcc 1
		.amdhsa_float_round_mode_32 0
		.amdhsa_float_round_mode_16_64 0
		.amdhsa_float_denorm_mode_32 3
		.amdhsa_float_denorm_mode_16_64 3
		.amdhsa_fp16_overflow 0
		.amdhsa_memory_ordered 1
		.amdhsa_forward_progress 1
		.amdhsa_inst_pref_size 2
		.amdhsa_round_robin_scheduling 0
		.amdhsa_exception_fp_ieee_invalid_op 0
		.amdhsa_exception_fp_denorm_src 0
		.amdhsa_exception_fp_ieee_div_zero 0
		.amdhsa_exception_fp_ieee_overflow 0
		.amdhsa_exception_fp_ieee_underflow 0
		.amdhsa_exception_fp_ieee_inexact 0
		.amdhsa_exception_int_div_zero 0
	.end_amdhsa_kernel
	.section	.text._ZN9rocsolver6v33100L16reset_batch_infoIdiiPdEEvT2_lT0_T1_,"axG",@progbits,_ZN9rocsolver6v33100L16reset_batch_infoIdiiPdEEvT2_lT0_T1_,comdat
.Lfunc_end28:
	.size	_ZN9rocsolver6v33100L16reset_batch_infoIdiiPdEEvT2_lT0_T1_, .Lfunc_end28-_ZN9rocsolver6v33100L16reset_batch_infoIdiiPdEEvT2_lT0_T1_
                                        ; -- End function
	.set _ZN9rocsolver6v33100L16reset_batch_infoIdiiPdEEvT2_lT0_T1_.num_vgpr, 4
	.set _ZN9rocsolver6v33100L16reset_batch_infoIdiiPdEEvT2_lT0_T1_.num_agpr, 0
	.set _ZN9rocsolver6v33100L16reset_batch_infoIdiiPdEEvT2_lT0_T1_.numbered_sgpr, 8
	.set _ZN9rocsolver6v33100L16reset_batch_infoIdiiPdEEvT2_lT0_T1_.num_named_barrier, 0
	.set _ZN9rocsolver6v33100L16reset_batch_infoIdiiPdEEvT2_lT0_T1_.private_seg_size, 0
	.set _ZN9rocsolver6v33100L16reset_batch_infoIdiiPdEEvT2_lT0_T1_.uses_vcc, 1
	.set _ZN9rocsolver6v33100L16reset_batch_infoIdiiPdEEvT2_lT0_T1_.uses_flat_scratch, 0
	.set _ZN9rocsolver6v33100L16reset_batch_infoIdiiPdEEvT2_lT0_T1_.has_dyn_sized_stack, 0
	.set _ZN9rocsolver6v33100L16reset_batch_infoIdiiPdEEvT2_lT0_T1_.has_recursion, 0
	.set _ZN9rocsolver6v33100L16reset_batch_infoIdiiPdEEvT2_lT0_T1_.has_indirect_call, 0
	.section	.AMDGPU.csdata,"",@progbits
; Kernel info:
; codeLenInByte = 192
; TotalNumSgprs: 10
; NumVgprs: 4
; ScratchSize: 0
; MemoryBound: 0
; FloatMode: 240
; IeeeMode: 1
; LDSByteSize: 0 bytes/workgroup (compile time only)
; SGPRBlocks: 0
; VGPRBlocks: 0
; NumSGPRsForWavesPerEU: 10
; NumVGPRsForWavesPerEU: 4
; NamedBarCnt: 0
; Occupancy: 16
; WaveLimiterHint : 0
; COMPUTE_PGM_RSRC2:SCRATCH_EN: 0
; COMPUTE_PGM_RSRC2:USER_SGPR: 2
; COMPUTE_PGM_RSRC2:TRAP_HANDLER: 0
; COMPUTE_PGM_RSRC2:TGID_X_EN: 1
; COMPUTE_PGM_RSRC2:TGID_Y_EN: 1
; COMPUTE_PGM_RSRC2:TGID_Z_EN: 0
; COMPUTE_PGM_RSRC2:TIDIG_COMP_CNT: 0
	.section	.text._ZN9rocsolver6v33100L12sterf_kernelIdEEviPT_lS3_lPiS4_iS2_S2_S2_,"axG",@progbits,_ZN9rocsolver6v33100L12sterf_kernelIdEEviPT_lS3_lPiS4_iS2_S2_S2_,comdat
	.globl	_ZN9rocsolver6v33100L12sterf_kernelIdEEviPT_lS3_lPiS4_iS2_S2_S2_ ; -- Begin function _ZN9rocsolver6v33100L12sterf_kernelIdEEviPT_lS3_lPiS4_iS2_S2_S2_
	.p2align	8
	.type	_ZN9rocsolver6v33100L12sterf_kernelIdEEviPT_lS3_lPiS4_iS2_S2_S2_,@function
_ZN9rocsolver6v33100L12sterf_kernelIdEEviPT_lS3_lPiS4_iS2_S2_S2_: ; @_ZN9rocsolver6v33100L12sterf_kernelIdEEviPT_lS3_lPiS4_iS2_S2_S2_
; %bb.0:
	s_clause 0x2
	s_load_b256 s[4:11], s[0:1], 0x8
	s_load_b32 s33, s[0:1], 0x0
	s_load_b32 s56, s[0:1], 0x38
	s_bfe_u32 s2, ttmp6, 0x4000c
	s_and_b32 s3, ttmp6, 15
	s_add_co_i32 s2, s2, 1
	s_getreg_b32 s12, hwreg(HW_REG_IB_STS2, 6, 4)
	s_mul_i32 s2, ttmp9, s2
	s_mov_b32 s29, 0
	s_add_co_i32 s3, s3, s2
	s_cmp_eq_u32 s12, 0
	s_cselect_b32 s16, ttmp9, s3
	s_delay_alu instid0(SALU_CYCLE_1)
	s_ashr_i32 s17, s16, 31
	s_wait_kmcnt 0x0
	s_mul_u64 s[2:3], s[6:7], s[16:17]
	s_mul_u64 s[6:7], s[10:11], s[16:17]
	s_min_i32 s12, s33, s56
	s_lshl_b64 s[10:11], s[2:3], 3
	s_lshl_b64 s[2:3], s[6:7], 3
	s_cmp_lt_i32 s12, 1
	s_add_nc_u64 s[6:7], s[4:5], s[10:11]
	s_add_nc_u64 s[10:11], s[8:9], s[2:3]
	s_cbranch_scc1 .LBB29_147
; %bb.1:
	s_clause 0x1
	s_load_b128 s[12:15], s[0:1], 0x40
	s_load_b64 s[18:19], s[0:1], 0x50
	v_mov_b64_e32 v[2:3], 0
	v_mov_b32_e32 v24, 0
	s_add_nc_u64 s[8:9], s[8:9], s[2:3]
	s_add_co_i32 s57, s33, -1
	s_mov_b64 s[20:21], 0x3ff6a09e667f3bcd
	s_add_nc_u64 s[22:23], s[8:9], -8
	s_add_nc_u64 s[24:25], s[6:7], 8
	s_add_nc_u64 s[26:27], s[8:9], 8
	s_mov_b32 s58, 0
	s_wait_kmcnt 0x0
	v_mul_f64_e64 v[0:1], s[12:13], s[12:13]
	s_branch .LBB29_3
.LBB29_2:                               ;   in Loop: Header=BB29_3 Depth=1
	s_and_not1_b32 vcc_lo, exec_lo, s2
	s_cbranch_vccz .LBB29_20
.LBB29_3:                               ; =>This Loop Header: Depth=1
                                        ;     Child Loop BB29_7 Depth 2
                                        ;     Child Loop BB29_14 Depth 2
	;; [unrolled: 1-line block ×6, first 2 shown]
                                        ;       Child Loop BB29_56 Depth 3
                                        ;       Child Loop BB29_69 Depth 3
                                        ;     Child Loop BB29_101 Depth 2
                                        ;       Child Loop BB29_103 Depth 3
                                        ;       Child Loop BB29_116 Depth 3
                                        ;     Child Loop BB29_46 Depth 2
                                        ;     Child Loop BB29_50 Depth 2
	s_mov_b32 s28, s29
	s_cmp_lt_i32 s29, 1
	s_cbranch_scc1 .LBB29_5
; %bb.4:                                ;   in Loop: Header=BB29_3 Depth=1
	s_wait_xcnt 0x0
	v_mov_b32_e32 v4, s28
	global_store_b64 v4, v[2:3], s[10:11] offset:-8 scale_offset
.LBB29_5:                               ;   in Loop: Header=BB29_3 Depth=1
	s_ashr_i32 s29, s28, 31
	s_mov_b32 s30, s28
	s_lshl_b64 s[34:35], s[28:29], 3
	s_wait_xcnt 0x0
	s_add_nc_u64 s[4:5], s[22:23], s[34:35]
	s_add_nc_u64 s[36:37], s[24:25], s[34:35]
	s_mov_b32 s2, -1
	s_cmp_ge_i32 s30, s57
	s_mov_b32 s3, -1
                                        ; implicit-def: $sgpr29
	s_cbranch_scc1 .LBB29_7
.LBB29_6:                               ;   in Loop: Header=BB29_3 Depth=1
	s_wait_loadcnt 0x0
	s_clause 0x1
	global_load_b128 v[4:7], v24, s[36:37] offset:-8
	global_load_b64 v[16:17], v24, s[4:5] offset:8
	s_wait_xcnt 0x0
	s_add_nc_u64 s[4:5], s[4:5], 8
	s_add_nc_u64 s[36:37], s[36:37], 8
	s_wait_loadcnt 0x1
	v_cmp_gt_f64_e64 s2, 0x10000000, |v[4:5]|
	v_cmp_gt_f64_e64 s3, 0x10000000, |v[6:7]|
	s_and_b32 s2, s2, exec_lo
	s_cselect_b32 s2, 0x100, 0
	s_cselect_b32 s31, 0xffffff80, 0
	s_add_co_i32 s29, s30, 1
	s_and_b32 s3, s3, exec_lo
	v_ldexp_f64 v[4:5], |v[4:5]|, s2
	s_cselect_b32 s2, 0x100, 0
	s_delay_alu instid0(SALU_CYCLE_1) | instskip(SKIP_1) | instid1(VALU_DEP_2)
	v_ldexp_f64 v[6:7], |v[6:7]|, s2
	s_cselect_b32 s2, 0xffffff80, 0
	v_cmp_class_f64_e64 vcc_lo, v[4:5], 0x260
	v_rsq_f64_e32 v[8:9], v[4:5]
	s_delay_alu instid0(VALU_DEP_2) | instskip(SKIP_1) | instid1(TRANS32_DEP_1)
	v_rsq_f64_e32 v[10:11], v[6:7]
	v_nop
	v_mul_f64_e32 v[14:15], v[6:7], v[10:11]
	v_mul_f64_e32 v[10:11], 0.5, v[10:11]
	s_delay_alu instid0(VALU_DEP_1) | instskip(NEXT) | instid1(VALU_DEP_1)
	v_fma_f64 v[20:21], -v[10:11], v[14:15], 0.5
	v_fmac_f64_e32 v[14:15], v[14:15], v[20:21]
	v_fmac_f64_e32 v[10:11], v[10:11], v[20:21]
	s_delay_alu instid0(VALU_DEP_2) | instskip(NEXT) | instid1(VALU_DEP_1)
	v_fma_f64 v[20:21], -v[14:15], v[14:15], v[6:7]
	v_fmac_f64_e32 v[14:15], v[20:21], v[10:11]
	s_delay_alu instid0(VALU_DEP_1) | instskip(NEXT) | instid1(VALU_DEP_1)
	v_fma_f64 v[20:21], -v[14:15], v[14:15], v[6:7]
	v_fmac_f64_e32 v[14:15], v[20:21], v[10:11]
	s_delay_alu instid0(VALU_DEP_1) | instskip(SKIP_1) | instid1(TRANS32_DEP_2)
	v_ldexp_f64 v[10:11], v[14:15], s2
	v_cmp_class_f64_e64 s2, v[6:7], 0x260
	v_mul_f64_e32 v[12:13], v[4:5], v[8:9]
	s_delay_alu instid0(VALU_DEP_2) | instskip(NEXT) | instid1(VALU_DEP_4)
	v_dual_mul_f64 v[8:9], 0.5, v[8:9] :: v_dual_cndmask_b32 v6, v10, v6, s2
	v_cndmask_b32_e64 v7, v11, v7, s2
	s_delay_alu instid0(VALU_DEP_2) | instskip(SKIP_1) | instid1(VALU_DEP_1)
	v_fma_f64 v[18:19], -v[8:9], v[12:13], 0.5
	s_mov_b32 s2, 0
	v_fmac_f64_e32 v[12:13], v[12:13], v[18:19]
	v_fmac_f64_e32 v[8:9], v[8:9], v[18:19]
	s_delay_alu instid0(VALU_DEP_2) | instskip(NEXT) | instid1(VALU_DEP_1)
	v_fma_f64 v[18:19], -v[12:13], v[12:13], v[4:5]
	v_fmac_f64_e32 v[12:13], v[18:19], v[8:9]
	s_delay_alu instid0(VALU_DEP_1) | instskip(NEXT) | instid1(VALU_DEP_1)
	v_fma_f64 v[18:19], -v[12:13], v[12:13], v[4:5]
	v_fmac_f64_e32 v[12:13], v[18:19], v[8:9]
	s_delay_alu instid0(VALU_DEP_1) | instskip(NEXT) | instid1(VALU_DEP_1)
	v_ldexp_f64 v[8:9], v[12:13], s31
	v_dual_cndmask_b32 v5, v9, v5 :: v_dual_cndmask_b32 v4, v8, v4
	s_delay_alu instid0(VALU_DEP_1) | instskip(NEXT) | instid1(VALU_DEP_1)
	v_mul_f64_e32 v[4:5], v[4:5], v[6:7]
	v_mul_f64_e32 v[4:5], s[12:13], v[4:5]
	s_wait_loadcnt 0x0
	s_delay_alu instid0(VALU_DEP_1)
	v_cmp_le_f64_e64 s3, |v[16:17]|, v[4:5]
.LBB29_7:                               ;   Parent Loop BB29_3 Depth=1
                                        ; =>  This Inner Loop Header: Depth=2
	s_delay_alu instid0(VALU_DEP_1)
	s_and_not1_b32 vcc_lo, exec_lo, s3
	s_cbranch_vccz .LBB29_9
; %bb.8:                                ;   in Loop: Header=BB29_7 Depth=2
	s_mov_b32 s30, s29
	s_mov_b32 s2, -1
	s_cmp_ge_i32 s30, s57
	s_mov_b32 s3, -1
                                        ; implicit-def: $sgpr29
	s_cbranch_scc0 .LBB29_6
	s_branch .LBB29_7
.LBB29_9:                               ;   in Loop: Header=BB29_3 Depth=1
	s_and_not1_b32 vcc_lo, exec_lo, s2
	s_mov_b32 s2, -1
	s_cbranch_vccnz .LBB29_16
; %bb.10:                               ;   in Loop: Header=BB29_3 Depth=1
	s_and_not1_b32 vcc_lo, exec_lo, s2
	s_cbranch_vccz .LBB29_17
.LBB29_11:                              ;   in Loop: Header=BB29_3 Depth=1
	s_cmp_lg_u32 s30, s28
	s_mov_b32 s38, -1
	s_cbranch_scc0 .LBB29_18
.LBB29_12:                              ;   in Loop: Header=BB29_3 Depth=1
	s_wait_xcnt 0x0
	v_mov_b32_e32 v4, s30
	s_cmp_lt_i32 s28, s30
	s_cselect_b32 s40, -1, 0
	s_cmp_ge_i32 s28, s30
	s_wait_loadcnt 0x0
	global_load_b64 v[6:7], v4, s[6:7] scale_offset
	s_wait_loadcnt 0x0
	v_and_b32_e32 v5, 0x7fffffff, v7
	s_wait_xcnt 0x0
	v_mov_b32_e32 v4, v6
	s_cbranch_scc1 .LBB29_15
; %bb.13:                               ;   in Loop: Header=BB29_3 Depth=1
	s_add_nc_u64 s[2:3], s[6:7], s[34:35]
	s_add_nc_u64 s[4:5], s[8:9], s[34:35]
	s_mov_b32 s31, s28
.LBB29_14:                              ;   Parent Loop BB29_3 Depth=1
                                        ; =>  This Inner Loop Header: Depth=2
	s_clause 0x1
	global_load_b64 v[8:9], v24, s[4:5]
	global_load_b64 v[10:11], v24, s[2:3]
	v_max_num_f64_e32 v[4:5], v[4:5], v[4:5]
	s_add_co_i32 s31, s31, 1
	s_wait_xcnt 0x0
	s_add_nc_u64 s[2:3], s[2:3], 8
	s_cmp_lt_i32 s31, s30
	s_add_nc_u64 s[4:5], s[4:5], 8
	s_wait_loadcnt 0x1
	v_max_num_f64_e64 v[8:9], |v[8:9]|, |v[8:9]|
	s_wait_loadcnt 0x0
	v_max_num_f64_e64 v[10:11], |v[10:11]|, |v[10:11]|
	s_delay_alu instid0(VALU_DEP_1) | instskip(NEXT) | instid1(VALU_DEP_1)
	v_max_num_f64_e32 v[8:9], v[10:11], v[8:9]
	v_max_num_f64_e32 v[4:5], v[4:5], v[8:9]
	s_cbranch_scc1 .LBB29_14
.LBB29_15:                              ;   in Loop: Header=BB29_3 Depth=1
	s_ashr_i32 s31, s30, 31
	s_delay_alu instid0(SALU_CYCLE_1) | instskip(NEXT) | instid1(SALU_CYCLE_1)
	s_lshl_b64 s[2:3], s[30:31], 3
	s_add_nc_u64 s[36:37], s[6:7], s[2:3]
	s_delay_alu instid0(VALU_DEP_1)
	v_cmp_eq_f64_e64 s2, 0, v[4:5]
	s_and_b32 vcc_lo, exec_lo, s2
	s_mov_b32 s2, -1
	s_cbranch_vccz .LBB29_2
	s_branch .LBB29_19
.LBB29_16:                              ;   in Loop: Header=BB29_3 Depth=1
	global_store_b64 v24, v[2:3], s[4:5]
	s_cbranch_execnz .LBB29_11
.LBB29_17:                              ;   in Loop: Header=BB29_3 Depth=1
	s_max_i32 s30, s28, s57
	s_delay_alu instid0(SALU_CYCLE_1)
	s_add_co_i32 s29, s30, 1
	s_cmp_lg_u32 s30, s28
	s_mov_b32 s38, -1
	s_cbranch_scc1 .LBB29_12
.LBB29_18:                              ;   in Loop: Header=BB29_3 Depth=1
                                        ; implicit-def: $sgpr36_sgpr37
                                        ; implicit-def: $vgpr6_vgpr7
                                        ; implicit-def: $sgpr40
                                        ; implicit-def: $vgpr4_vgpr5
	s_mov_b32 s2, -1
	s_cbranch_execz .LBB29_2
.LBB29_19:                              ;   in Loop: Header=BB29_3 Depth=1
	s_cmp_ge_i32 s29, s33
	s_mov_b32 s38, 0
	s_cselect_b32 s2, -1, 0
	s_branch .LBB29_2
.LBB29_20:                              ;   in Loop: Header=BB29_3 Depth=1
	s_and_b32 vcc_lo, exec_lo, s38
	s_mov_b32 s2, -1
                                        ; implicit-def: $sgpr59
	s_cbranch_vccz .LBB29_52
; %bb.21:                               ;   in Loop: Header=BB29_3 Depth=1
	v_cmp_nlt_f64_e32 vcc_lo, s[18:19], v[4:5]
	s_add_nc_u64 s[38:39], s[6:7], s[34:35]
	s_cbranch_vccz .LBB29_27
; %bb.22:                               ;   in Loop: Header=BB29_3 Depth=1
	v_cmp_gt_f64_e32 vcc_lo, s[14:15], v[4:5]
	s_cbranch_vccz .LBB29_28
; %bb.23:                               ;   in Loop: Header=BB29_3 Depth=1
	v_div_scale_f64 v[8:9], null, s[14:15], s[14:15], v[4:5]
	v_div_scale_f64 v[14:15], vcc_lo, v[4:5], s[14:15], v[4:5]
	s_mov_b32 s2, 0
	v_rcp_f64_e32 v[10:11], v[8:9]
	v_nop
	s_delay_alu instid0(TRANS32_DEP_1) | instskip(NEXT) | instid1(VALU_DEP_1)
	v_fma_f64 v[12:13], -v[8:9], v[10:11], 1.0
	v_fmac_f64_e32 v[10:11], v[10:11], v[12:13]
	s_delay_alu instid0(VALU_DEP_1) | instskip(NEXT) | instid1(VALU_DEP_1)
	v_fma_f64 v[12:13], -v[8:9], v[10:11], 1.0
	v_fmac_f64_e32 v[10:11], v[10:11], v[12:13]
	s_delay_alu instid0(VALU_DEP_1) | instskip(NEXT) | instid1(VALU_DEP_1)
	v_mul_f64_e32 v[12:13], v[14:15], v[10:11]
	v_fma_f64 v[8:9], -v[8:9], v[12:13], v[14:15]
	s_delay_alu instid0(VALU_DEP_1) | instskip(SKIP_1) | instid1(VALU_DEP_1)
	v_div_fmas_f64 v[8:9], v[8:9], v[10:11], v[12:13]
	s_and_b32 vcc_lo, exec_lo, s40
	v_div_fixup_f64 v[8:9], v[8:9], s[14:15], v[4:5]
	s_wait_loadcnt 0x0
	s_delay_alu instid0(VALU_DEP_1)
	v_mul_f64_e32 v[10:11], v[6:7], v[8:9]
	global_store_b64 v24, v[10:11], s[36:37]
	s_cbranch_vccz .LBB29_28
; %bb.24:                               ;   in Loop: Header=BB29_3 Depth=1
	s_add_nc_u64 s[2:3], s[6:7], s[34:35]
	s_wait_xcnt 0x1
	s_add_nc_u64 s[4:5], s[8:9], s[34:35]
	s_mov_b32 s31, s28
.LBB29_25:                              ;   Parent Loop BB29_3 Depth=1
                                        ; =>  This Inner Loop Header: Depth=2
	global_load_b64 v[10:11], v24, s[2:3]
	s_add_co_i32 s31, s31, 1
	s_delay_alu instid0(SALU_CYCLE_1)
	s_cmp_lt_i32 s31, s30
	s_wait_loadcnt 0x0
	v_mul_f64_e32 v[10:11], v[8:9], v[10:11]
	s_clause 0x1
	global_store_b64 v24, v[10:11], s[2:3]
	global_load_b64 v[10:11], v24, s[4:5]
	s_add_nc_u64 s[2:3], s[2:3], 8
	s_wait_loadcnt 0x0
	v_mul_f64_e32 v[10:11], v[8:9], v[10:11]
	global_store_b64 v24, v[10:11], s[4:5]
	s_wait_xcnt 0x0
	s_add_nc_u64 s[4:5], s[4:5], 8
	s_cbranch_scc1 .LBB29_25
; %bb.26:                               ;   in Loop: Header=BB29_3 Depth=1
	s_mov_b32 s2, -1
	s_branch .LBB29_33
.LBB29_27:                              ;   in Loop: Header=BB29_3 Depth=1
	s_mov_b32 s2, 0
	s_cbranch_execnz .LBB29_29
	s_branch .LBB29_33
.LBB29_28:                              ;   in Loop: Header=BB29_3 Depth=1
	s_branch .LBB29_33
.LBB29_29:                              ;   in Loop: Header=BB29_3 Depth=1
	v_div_scale_f64 v[8:9], null, s[18:19], s[18:19], v[4:5]
	v_div_scale_f64 v[14:15], vcc_lo, v[4:5], s[18:19], v[4:5]
	s_wait_xcnt 0x0
	s_delay_alu instid0(VALU_DEP_2) | instskip(SKIP_1) | instid1(TRANS32_DEP_1)
	v_rcp_f64_e32 v[10:11], v[8:9]
	v_nop
	v_fma_f64 v[12:13], -v[8:9], v[10:11], 1.0
	s_delay_alu instid0(VALU_DEP_1) | instskip(NEXT) | instid1(VALU_DEP_1)
	v_fmac_f64_e32 v[10:11], v[10:11], v[12:13]
	v_fma_f64 v[12:13], -v[8:9], v[10:11], 1.0
	s_delay_alu instid0(VALU_DEP_1) | instskip(NEXT) | instid1(VALU_DEP_1)
	v_fmac_f64_e32 v[10:11], v[10:11], v[12:13]
	v_mul_f64_e32 v[12:13], v[14:15], v[10:11]
	s_delay_alu instid0(VALU_DEP_1) | instskip(NEXT) | instid1(VALU_DEP_1)
	v_fma_f64 v[8:9], -v[8:9], v[12:13], v[14:15]
	v_div_fmas_f64 v[8:9], v[8:9], v[10:11], v[12:13]
	s_and_b32 vcc_lo, exec_lo, s40
	s_delay_alu instid0(VALU_DEP_1) | instskip(SKIP_1) | instid1(VALU_DEP_1)
	v_div_fixup_f64 v[8:9], v[8:9], s[18:19], v[4:5]
	s_wait_loadcnt 0x0
	v_mul_f64_e32 v[6:7], v[6:7], v[8:9]
	global_store_b64 v24, v[6:7], s[36:37]
	s_cbranch_vccz .LBB29_33
; %bb.30:                               ;   in Loop: Header=BB29_3 Depth=1
	s_add_nc_u64 s[2:3], s[6:7], s[34:35]
	s_add_nc_u64 s[4:5], s[8:9], s[34:35]
	s_mov_b32 s31, s28
.LBB29_31:                              ;   Parent Loop BB29_3 Depth=1
                                        ; =>  This Inner Loop Header: Depth=2
	global_load_b64 v[6:7], v24, s[2:3]
	s_add_co_i32 s31, s31, 1
	s_delay_alu instid0(SALU_CYCLE_1)
	s_cmp_ge_i32 s31, s30
	s_wait_loadcnt 0x0
	v_mul_f64_e32 v[6:7], v[8:9], v[6:7]
	s_clause 0x1
	global_store_b64 v24, v[6:7], s[2:3]
	global_load_b64 v[6:7], v24, s[4:5]
	s_add_nc_u64 s[2:3], s[2:3], 8
	s_wait_loadcnt 0x0
	v_mul_f64_e32 v[6:7], v[8:9], v[6:7]
	global_store_b64 v24, v[6:7], s[4:5]
	s_wait_xcnt 0x0
	s_add_nc_u64 s[4:5], s[4:5], 8
	s_cbranch_scc0 .LBB29_31
; %bb.32:                               ;   in Loop: Header=BB29_3 Depth=1
	s_mov_b32 s2, -1
.LBB29_33:                              ;   in Loop: Header=BB29_3 Depth=1
	s_wait_xcnt 0x0
	s_wait_loadcnt 0x0
	v_cndmask_b32_e64 v6, 0, 1, s40
	s_and_b32 vcc_lo, exec_lo, s2
	s_delay_alu instid0(VALU_DEP_1)
	v_cmp_ne_u32_e64 s2, 1, v6
	s_cbranch_vccz .LBB29_37
; %bb.34:                               ;   in Loop: Header=BB29_3 Depth=1
	s_and_b32 vcc_lo, exec_lo, s2
	s_cbranch_vccnz .LBB29_37
; %bb.35:                               ;   in Loop: Header=BB29_3 Depth=1
	s_add_nc_u64 s[4:5], s[8:9], s[34:35]
	s_mov_b32 s3, s28
.LBB29_36:                              ;   Parent Loop BB29_3 Depth=1
                                        ; =>  This Inner Loop Header: Depth=2
	global_load_b64 v[6:7], v24, s[4:5]
	s_add_co_i32 s3, s3, 1
	s_delay_alu instid0(SALU_CYCLE_1)
	s_cmp_lt_i32 s3, s30
	s_wait_loadcnt 0x0
	v_mul_f64_e32 v[6:7], v[6:7], v[6:7]
	global_store_b64 v24, v[6:7], s[4:5]
	s_wait_xcnt 0x0
	s_add_nc_u64 s[4:5], s[4:5], 8
	s_cbranch_scc1 .LBB29_36
.LBB29_37:                              ;   in Loop: Header=BB29_3 Depth=1
	s_clause 0x1
	global_load_b64 v[6:7], v24, s[36:37]
	global_load_b64 v[8:9], v24, s[38:39]
	s_mov_b32 s4, -1
                                        ; implicit-def: $sgpr59
	s_wait_loadcnt 0x0
	v_cmp_lt_f64_e64 s3, |v[6:7]|, |v[8:9]|
	s_and_b32 s3, s3, exec_lo
	s_cselect_b32 s31, s28, s30
	s_cselect_b32 s40, s30, s28
	s_cmp_lt_i32 s58, s56
	s_cselect_b32 s3, -1, 0
	s_cmp_lt_i32 s31, s40
	v_cndmask_b32_e64 v6, 0, 1, s3
	s_delay_alu instid0(VALU_DEP_1)
	v_cmp_ne_u32_e64 s3, 1, v6
	s_cbranch_scc0 .LBB29_40
; %bb.38:                               ;   in Loop: Header=BB29_3 Depth=1
	s_and_not1_b32 vcc_lo, exec_lo, s4
	s_cbranch_vccz .LBB29_42
.LBB29_39:                              ;   in Loop: Header=BB29_3 Depth=1
	v_cmp_lt_f64_e32 vcc_lo, s[18:19], v[4:5]
	s_and_not1_b32 vcc_lo, exec_lo, vcc_lo
	s_cbranch_vccz .LBB29_44
	s_branch .LBB29_47
.LBB29_40:                              ;   in Loop: Header=BB29_3 Depth=1
	s_and_b32 vcc_lo, exec_lo, s3
	s_mov_b32 s59, s58
	s_mov_b32 s42, s40
	s_cbranch_vccz .LBB29_54
.LBB29_41:                              ;   in Loop: Header=BB29_3 Depth=1
	s_cbranch_execnz .LBB29_39
.LBB29_42:                              ;   in Loop: Header=BB29_3 Depth=1
	s_and_b32 vcc_lo, exec_lo, s3
	s_cbranch_vccz .LBB29_101
.LBB29_43:                              ;   in Loop: Header=BB29_3 Depth=1
	s_mov_b32 s59, s58
	v_cmp_lt_f64_e32 vcc_lo, s[18:19], v[4:5]
	s_and_not1_b32 vcc_lo, exec_lo, vcc_lo
	s_cbranch_vccnz .LBB29_47
.LBB29_44:                              ;   in Loop: Header=BB29_3 Depth=1
	s_wait_loadcnt 0x0
	v_div_scale_f64 v[6:7], null, v[4:5], v[4:5], s[18:19]
	global_load_b64 v[8:9], v24, s[36:37]
	v_rcp_f64_e32 v[10:11], v[6:7]
	v_nop
	s_delay_alu instid0(TRANS32_DEP_1) | instskip(NEXT) | instid1(VALU_DEP_1)
	v_fma_f64 v[12:13], -v[6:7], v[10:11], 1.0
	v_fmac_f64_e32 v[10:11], v[10:11], v[12:13]
	s_delay_alu instid0(VALU_DEP_1) | instskip(NEXT) | instid1(VALU_DEP_1)
	v_fma_f64 v[12:13], -v[6:7], v[10:11], 1.0
	v_fmac_f64_e32 v[10:11], v[10:11], v[12:13]
	v_div_scale_f64 v[12:13], vcc_lo, s[18:19], v[4:5], s[18:19]
	s_delay_alu instid0(VALU_DEP_1) | instskip(NEXT) | instid1(VALU_DEP_1)
	v_mul_f64_e32 v[14:15], v[12:13], v[10:11]
	v_fma_f64 v[6:7], -v[6:7], v[14:15], v[12:13]
	s_delay_alu instid0(VALU_DEP_1) | instskip(SKIP_1) | instid1(VALU_DEP_1)
	v_div_fmas_f64 v[6:7], v[6:7], v[10:11], v[14:15]
	s_and_b32 vcc_lo, exec_lo, s2
	v_div_fixup_f64 v[6:7], v[6:7], v[4:5], s[18:19]
	s_wait_loadcnt 0x0
	s_delay_alu instid0(VALU_DEP_1)
	v_mul_f64_e32 v[8:9], v[6:7], v[8:9]
	global_store_b64 v24, v[8:9], s[36:37]
	s_cbranch_vccnz .LBB29_47
; %bb.45:                               ;   in Loop: Header=BB29_3 Depth=1
	s_add_nc_u64 s[4:5], s[6:7], s[34:35]
	s_add_nc_u64 s[40:41], s[8:9], s[34:35]
	s_mov_b32 s3, s28
.LBB29_46:                              ;   Parent Loop BB29_3 Depth=1
                                        ; =>  This Inner Loop Header: Depth=2
	global_load_b64 v[8:9], v24, s[4:5]
	s_add_co_i32 s3, s3, 1
	s_delay_alu instid0(SALU_CYCLE_1)
	s_cmp_lt_i32 s3, s30
	s_wait_loadcnt 0x0
	v_mul_f64_e32 v[8:9], v[6:7], v[8:9]
	s_clause 0x1
	global_store_b64 v24, v[8:9], s[4:5]
	global_load_b64 v[8:9], v24, s[40:41]
	s_add_nc_u64 s[4:5], s[4:5], 8
	s_wait_loadcnt 0x0
	v_mul_f64_e32 v[8:9], v[6:7], v[8:9]
	global_store_b64 v24, v[8:9], s[40:41]
	s_wait_xcnt 0x0
	s_add_nc_u64 s[40:41], s[40:41], 8
	s_cbranch_scc1 .LBB29_46
.LBB29_47:                              ;   in Loop: Header=BB29_3 Depth=1
	v_cmp_ngt_f64_e32 vcc_lo, s[14:15], v[4:5]
	s_cbranch_vccnz .LBB29_51
; %bb.48:                               ;   in Loop: Header=BB29_3 Depth=1
	s_wait_loadcnt 0x0
	v_div_scale_f64 v[6:7], null, v[4:5], v[4:5], s[14:15]
	global_load_b64 v[8:9], v24, s[36:37]
	v_rcp_f64_e32 v[10:11], v[6:7]
	v_nop
	s_delay_alu instid0(TRANS32_DEP_1) | instskip(NEXT) | instid1(VALU_DEP_1)
	v_fma_f64 v[12:13], -v[6:7], v[10:11], 1.0
	v_fmac_f64_e32 v[10:11], v[10:11], v[12:13]
	s_delay_alu instid0(VALU_DEP_1) | instskip(NEXT) | instid1(VALU_DEP_1)
	v_fma_f64 v[12:13], -v[6:7], v[10:11], 1.0
	v_fmac_f64_e32 v[10:11], v[10:11], v[12:13]
	v_div_scale_f64 v[12:13], vcc_lo, s[14:15], v[4:5], s[14:15]
	s_delay_alu instid0(VALU_DEP_1) | instskip(NEXT) | instid1(VALU_DEP_1)
	v_mul_f64_e32 v[14:15], v[12:13], v[10:11]
	v_fma_f64 v[6:7], -v[6:7], v[14:15], v[12:13]
	s_delay_alu instid0(VALU_DEP_1) | instskip(SKIP_1) | instid1(VALU_DEP_1)
	v_div_fmas_f64 v[6:7], v[6:7], v[10:11], v[14:15]
	s_and_b32 vcc_lo, exec_lo, s2
	v_div_fixup_f64 v[4:5], v[6:7], v[4:5], s[14:15]
	s_wait_loadcnt 0x0
	s_delay_alu instid0(VALU_DEP_1)
	v_mul_f64_e32 v[6:7], v[4:5], v[8:9]
	global_store_b64 v24, v[6:7], s[36:37]
	s_cbranch_vccnz .LBB29_51
; %bb.49:                               ;   in Loop: Header=BB29_3 Depth=1
	s_add_nc_u64 s[2:3], s[8:9], s[34:35]
.LBB29_50:                              ;   Parent Loop BB29_3 Depth=1
                                        ; =>  This Inner Loop Header: Depth=2
	global_load_b64 v[6:7], v24, s[38:39]
	s_add_co_i32 s28, s28, 1
	s_delay_alu instid0(SALU_CYCLE_1)
	s_cmp_lt_i32 s28, s30
	s_wait_loadcnt 0x0
	v_mul_f64_e32 v[6:7], v[4:5], v[6:7]
	s_clause 0x1
	global_store_b64 v24, v[6:7], s[38:39]
	global_load_b64 v[6:7], v24, s[2:3]
	s_add_nc_u64 s[38:39], s[38:39], 8
	s_wait_loadcnt 0x0
	v_mul_f64_e32 v[6:7], v[4:5], v[6:7]
	global_store_b64 v24, v[6:7], s[2:3]
	s_wait_xcnt 0x0
	s_add_nc_u64 s[2:3], s[2:3], 8
	s_cbranch_scc1 .LBB29_50
.LBB29_51:                              ;   in Loop: Header=BB29_3 Depth=1
	s_cmp_ge_i32 s59, s56
	s_cselect_b32 s2, -1, 0
	s_cmp_ge_i32 s29, s33
	s_cselect_b32 s3, -1, 0
	s_delay_alu instid0(SALU_CYCLE_1)
	s_or_b32 s2, s3, s2
.LBB29_52:                              ;   in Loop: Header=BB29_3 Depth=1
	s_delay_alu instid0(SALU_CYCLE_1)
	s_and_b32 vcc_lo, exec_lo, s2
	s_mov_b32 s58, s59
	s_cbranch_vccz .LBB29_3
	s_branch .LBB29_147
.LBB29_53:                              ;   in Loop: Header=BB29_54 Depth=2
	s_and_not1_b32 vcc_lo, exec_lo, s5
	s_cbranch_vccz .LBB29_41
.LBB29_54:                              ;   Parent Loop BB29_3 Depth=1
                                        ; =>  This Loop Header: Depth=2
                                        ;       Child Loop BB29_56 Depth 3
                                        ;       Child Loop BB29_69 Depth 3
	s_ashr_i32 s43, s42, 31
	s_wait_xcnt 0x1
	s_max_i32 s44, s31, s42
	s_wait_xcnt 0x0
	s_lshl_b64 s[48:49], s[42:43], 3
	s_mov_b32 s41, s42
	s_add_nc_u64 s[4:5], s[22:23], s[48:49]
	s_add_nc_u64 s[46:47], s[24:25], s[48:49]
	s_mov_b32 s43, -1
	s_cmp_ge_i32 s41, s31
	s_mov_b32 s50, -1
                                        ; implicit-def: $sgpr45
	s_cbranch_scc1 .LBB29_56
.LBB29_55:                              ;   in Loop: Header=BB29_54 Depth=2
	s_wait_loadcnt 0x0
	s_clause 0x1
	global_load_b128 v[6:9], v24, s[46:47] offset:-8
	global_load_b64 v[10:11], v24, s[4:5] offset:8
	s_wait_xcnt 0x0
	s_add_nc_u64 s[4:5], s[4:5], 8
	s_add_co_i32 s45, s41, 1
	s_add_nc_u64 s[46:47], s[46:47], 8
	s_mov_b32 s43, 0
	s_wait_loadcnt 0x1
	v_mul_f64_e32 v[6:7], v[6:7], v[8:9]
	s_delay_alu instid0(VALU_DEP_1) | instskip(SKIP_1) | instid1(VALU_DEP_1)
	v_mul_f64_e64 v[6:7], v[0:1], |v[6:7]|
	s_wait_loadcnt 0x0
	v_cmp_le_f64_e64 s50, |v[10:11]|, v[6:7]
.LBB29_56:                              ;   Parent Loop BB29_3 Depth=1
                                        ;     Parent Loop BB29_54 Depth=2
                                        ; =>    This Inner Loop Header: Depth=3
	s_delay_alu instid0(VALU_DEP_1)
	s_and_not1_b32 vcc_lo, exec_lo, s50
	s_cbranch_vccz .LBB29_58
; %bb.57:                               ;   in Loop: Header=BB29_56 Depth=3
	s_mov_b32 s41, s45
	s_mov_b32 s43, -1
	s_cmp_ge_i32 s41, s31
	s_mov_b32 s50, -1
                                        ; implicit-def: $sgpr45
	s_cbranch_scc0 .LBB29_55
	s_branch .LBB29_56
.LBB29_58:                              ;   in Loop: Header=BB29_54 Depth=2
	s_and_not1_b32 vcc_lo, exec_lo, s43
	s_cbranch_vccz .LBB29_60
; %bb.59:                               ;   in Loop: Header=BB29_54 Depth=2
	s_mov_b32 s44, s41
	global_store_b64 v24, v[2:3], s[4:5]
.LBB29_60:                              ;   in Loop: Header=BB29_54 Depth=2
	s_wait_xcnt 0x0
	s_add_co_i32 s4, s42, 1
	s_cmp_eq_u32 s44, s42
	s_mov_b32 s5, -1
	s_cbranch_scc1 .LBB29_75
; %bb.61:                               ;   in Loop: Header=BB29_54 Depth=2
	s_add_nc_u64 s[46:47], s[6:7], s[48:49]
	s_cmp_lg_u32 s44, s4
	s_wait_loadcnt 0x0
	global_load_b64 v[6:7], v24, s[46:47]
	s_cbranch_scc0 .LBB29_76
; %bb.62:                               ;   in Loop: Header=BB29_54 Depth=2
	s_mov_b32 s41, 0
	s_cmp_lg_u32 s59, s56
	s_mov_b32 s43, s56
	s_mov_b32 s4, 0
	s_cbranch_scc0 .LBB29_77
; %bb.63:                               ;   in Loop: Header=BB29_54 Depth=2
	s_add_nc_u64 s[50:51], s[10:11], s[48:49]
	s_clause 0x1
	global_load_b64 v[8:9], v24, s[50:51]
	global_load_b64 v[10:11], v24, s[46:47] offset:8
	s_wait_loadcnt 0x1
	v_cmp_gt_f64_e32 vcc_lo, 0x10000000, v[8:9]
	s_wait_loadcnt 0x0
	v_add_f64_e64 v[10:11], v[10:11], -v[6:7]
	s_and_b32 s4, vcc_lo, exec_lo
	s_cselect_b32 s4, 0x100, 0
	s_delay_alu instid0(SALU_CYCLE_1) | instskip(SKIP_1) | instid1(VALU_DEP_1)
	v_ldexp_f64 v[8:9], v[8:9], s4
	s_cselect_b32 s4, 0xffffff80, 0
	v_rsq_f64_e32 v[12:13], v[8:9]
	v_cmp_class_f64_e64 vcc_lo, v[8:9], 0x260
	s_delay_alu instid0(TRANS32_DEP_1) | instskip(SKIP_1) | instid1(VALU_DEP_1)
	v_mul_f64_e32 v[14:15], v[8:9], v[12:13]
	v_mul_f64_e32 v[12:13], 0.5, v[12:13]
	v_fma_f64 v[16:17], -v[12:13], v[14:15], 0.5
	s_delay_alu instid0(VALU_DEP_1) | instskip(SKIP_1) | instid1(VALU_DEP_2)
	v_fmac_f64_e32 v[14:15], v[14:15], v[16:17]
	v_fmac_f64_e32 v[12:13], v[12:13], v[16:17]
	v_fma_f64 v[16:17], -v[14:15], v[14:15], v[8:9]
	s_delay_alu instid0(VALU_DEP_1) | instskip(NEXT) | instid1(VALU_DEP_1)
	v_fmac_f64_e32 v[14:15], v[16:17], v[12:13]
	v_fma_f64 v[16:17], -v[14:15], v[14:15], v[8:9]
	s_delay_alu instid0(VALU_DEP_1) | instskip(NEXT) | instid1(VALU_DEP_1)
	v_fmac_f64_e32 v[14:15], v[16:17], v[12:13]
	v_ldexp_f64 v[12:13], v[14:15], s4
	s_delay_alu instid0(VALU_DEP_1) | instskip(NEXT) | instid1(VALU_DEP_1)
	v_dual_cndmask_b32 v9, v13, v9 :: v_dual_cndmask_b32 v8, v12, v8
	v_add_f64_e32 v[12:13], v[8:9], v[8:9]
	s_delay_alu instid0(VALU_DEP_1) | instskip(SKIP_1) | instid1(VALU_DEP_2)
	v_div_scale_f64 v[14:15], null, v[12:13], v[12:13], v[10:11]
	v_div_scale_f64 v[20:21], vcc_lo, v[10:11], v[12:13], v[10:11]
	v_rcp_f64_e32 v[16:17], v[14:15]
	v_nop
	s_delay_alu instid0(TRANS32_DEP_1) | instskip(NEXT) | instid1(VALU_DEP_1)
	v_fma_f64 v[18:19], -v[14:15], v[16:17], 1.0
	v_fmac_f64_e32 v[16:17], v[16:17], v[18:19]
	s_delay_alu instid0(VALU_DEP_1) | instskip(NEXT) | instid1(VALU_DEP_1)
	v_fma_f64 v[18:19], -v[14:15], v[16:17], 1.0
	v_fmac_f64_e32 v[16:17], v[16:17], v[18:19]
	s_delay_alu instid0(VALU_DEP_1) | instskip(NEXT) | instid1(VALU_DEP_1)
	v_mul_f64_e32 v[18:19], v[20:21], v[16:17]
	v_fma_f64 v[14:15], -v[14:15], v[18:19], v[20:21]
	s_delay_alu instid0(VALU_DEP_1) | instskip(NEXT) | instid1(VALU_DEP_1)
	v_div_fmas_f64 v[14:15], v[14:15], v[16:17], v[18:19]
	v_div_fixup_f64 v[10:11], v[14:15], v[12:13], v[10:11]
	s_delay_alu instid0(VALU_DEP_1) | instskip(NEXT) | instid1(VALU_DEP_1)
	v_fma_f64 v[12:13], v[10:11], v[10:11], 1.0
	v_cmp_gt_f64_e32 vcc_lo, 0x10000000, v[12:13]
	s_and_b32 s4, vcc_lo, exec_lo
	s_cselect_b32 s4, 0x100, 0
	s_delay_alu instid0(SALU_CYCLE_1) | instskip(SKIP_2) | instid1(VALU_DEP_1)
	v_ldexp_f64 v[12:13], v[12:13], s4
	s_cselect_b32 s4, 0xffffff80, 0
	s_cmp_le_i32 s44, s42
	v_rsq_f64_e32 v[14:15], v[12:13]
	v_cmp_class_f64_e64 vcc_lo, v[12:13], 0x260
	s_delay_alu instid0(TRANS32_DEP_1) | instskip(SKIP_1) | instid1(VALU_DEP_1)
	v_mul_f64_e32 v[16:17], v[12:13], v[14:15]
	v_mul_f64_e32 v[14:15], 0.5, v[14:15]
	v_fma_f64 v[18:19], -v[14:15], v[16:17], 0.5
	s_delay_alu instid0(VALU_DEP_1) | instskip(SKIP_1) | instid1(VALU_DEP_2)
	v_fmac_f64_e32 v[16:17], v[16:17], v[18:19]
	v_fmac_f64_e32 v[14:15], v[14:15], v[18:19]
	v_fma_f64 v[18:19], -v[16:17], v[16:17], v[12:13]
	s_delay_alu instid0(VALU_DEP_1) | instskip(NEXT) | instid1(VALU_DEP_1)
	v_fmac_f64_e32 v[16:17], v[18:19], v[14:15]
	v_fma_f64 v[18:19], -v[16:17], v[16:17], v[12:13]
	s_delay_alu instid0(VALU_DEP_1) | instskip(NEXT) | instid1(VALU_DEP_1)
	v_fmac_f64_e32 v[16:17], v[18:19], v[14:15]
	v_ldexp_f64 v[14:15], v[16:17], s4
	v_mov_b32_e32 v16, s44
	global_load_b64 v[16:17], v16, s[6:7] scale_offset
	v_cndmask_b32_e32 v13, v15, v13, vcc_lo
	s_delay_alu instid0(VALU_DEP_1) | instskip(SKIP_3) | instid1(VALU_DEP_3)
	v_and_b32_e32 v15, 0x7fffffff, v13
	v_or_b32_e32 v13, 0x80000000, v13
	v_cndmask_b32_e32 v12, v14, v12, vcc_lo
	v_cmp_nle_f64_e32 vcc_lo, 0, v[10:11]
	v_cndmask_b32_e32 v13, v15, v13, vcc_lo
	s_delay_alu instid0(VALU_DEP_1) | instskip(NEXT) | instid1(VALU_DEP_1)
	v_add_f64_e32 v[10:11], v[10:11], v[12:13]
	v_div_scale_f64 v[12:13], null, v[10:11], v[10:11], v[8:9]
	s_delay_alu instid0(VALU_DEP_1) | instskip(SKIP_1) | instid1(TRANS32_DEP_1)
	v_rcp_f64_e32 v[14:15], v[12:13]
	v_nop
	v_fma_f64 v[18:19], -v[12:13], v[14:15], 1.0
	s_delay_alu instid0(VALU_DEP_1) | instskip(NEXT) | instid1(VALU_DEP_1)
	v_fmac_f64_e32 v[14:15], v[14:15], v[18:19]
	v_fma_f64 v[18:19], -v[12:13], v[14:15], 1.0
	s_delay_alu instid0(VALU_DEP_1) | instskip(SKIP_1) | instid1(VALU_DEP_1)
	v_fmac_f64_e32 v[14:15], v[14:15], v[18:19]
	v_div_scale_f64 v[18:19], vcc_lo, v[8:9], v[10:11], v[8:9]
	v_mul_f64_e32 v[20:21], v[18:19], v[14:15]
	s_delay_alu instid0(VALU_DEP_1) | instskip(NEXT) | instid1(VALU_DEP_1)
	v_fma_f64 v[12:13], -v[12:13], v[20:21], v[18:19]
	v_div_fmas_f64 v[12:13], v[12:13], v[14:15], v[20:21]
	s_delay_alu instid0(VALU_DEP_1) | instskip(SKIP_1) | instid1(VALU_DEP_2)
	v_div_fixup_f64 v[8:9], v[12:13], v[10:11], v[8:9]
	v_mov_b64_e32 v[12:13], 0
	v_add_f64_e64 v[8:9], v[6:7], -v[8:9]
	s_wait_loadcnt 0x0
	s_delay_alu instid0(VALU_DEP_1) | instskip(SKIP_1) | instid1(VALU_DEP_1)
	v_add_f64_e64 v[14:15], v[16:17], -v[8:9]
	s_wait_xcnt 0x0
	v_mul_f64_e32 v[16:17], v[14:15], v[14:15]
	s_cbranch_scc1 .LBB29_97
; %bb.64:                               ;   in Loop: Header=BB29_54 Depth=2
	s_ashr_i32 s45, s44, 31
	s_delay_alu instid0(SALU_CYCLE_1) | instskip(NEXT) | instid1(SALU_CYCLE_1)
	s_lshl_b64 s[52:53], s[44:45], 3
	s_add_nc_u64 s[54:55], s[10:11], s[52:53]
	s_add_nc_u64 s[52:53], s[6:7], s[52:53]
	s_clause 0x1
	global_load_b64 v[10:11], v24, s[54:55] offset:-8
	global_load_b64 v[20:21], v24, s[52:53] offset:-8
	s_wait_loadcnt 0x1
	v_add_f64_e32 v[18:19], v[16:17], v[10:11]
	s_delay_alu instid0(VALU_DEP_1) | instskip(SKIP_2) | instid1(VALU_DEP_3)
	v_div_scale_f64 v[12:13], null, v[18:19], v[18:19], v[16:17]
	v_div_scale_f64 v[22:23], null, v[18:19], v[18:19], v[10:11]
	v_div_scale_f64 v[34:35], vcc_lo, v[16:17], v[18:19], v[16:17]
	v_rcp_f64_e32 v[26:27], v[12:13]
	s_delay_alu instid0(VALU_DEP_2) | instskip(NEXT) | instid1(TRANS32_DEP_2)
	v_rcp_f64_e32 v[28:29], v[22:23]
	v_fma_f64 v[30:31], -v[12:13], v[26:27], 1.0
	s_delay_alu instid0(TRANS32_DEP_1) | instskip(NEXT) | instid1(VALU_DEP_2)
	v_fma_f64 v[32:33], -v[22:23], v[28:29], 1.0
	v_fmac_f64_e32 v[26:27], v[26:27], v[30:31]
	s_delay_alu instid0(VALU_DEP_2) | instskip(NEXT) | instid1(VALU_DEP_2)
	v_fmac_f64_e32 v[28:29], v[28:29], v[32:33]
	v_fma_f64 v[30:31], -v[12:13], v[26:27], 1.0
	s_delay_alu instid0(VALU_DEP_2) | instskip(NEXT) | instid1(VALU_DEP_2)
	v_fma_f64 v[32:33], -v[22:23], v[28:29], 1.0
	v_fmac_f64_e32 v[26:27], v[26:27], v[30:31]
	v_div_scale_f64 v[30:31], s4, v[10:11], v[18:19], v[10:11]
	s_delay_alu instid0(VALU_DEP_3) | instskip(NEXT) | instid1(VALU_DEP_3)
	v_fmac_f64_e32 v[28:29], v[28:29], v[32:33]
	v_mul_f64_e32 v[32:33], v[34:35], v[26:27]
	s_delay_alu instid0(VALU_DEP_2) | instskip(NEXT) | instid1(VALU_DEP_2)
	v_mul_f64_e32 v[36:37], v[30:31], v[28:29]
	v_fma_f64 v[12:13], -v[12:13], v[32:33], v[34:35]
	s_delay_alu instid0(VALU_DEP_2) | instskip(NEXT) | instid1(VALU_DEP_2)
	v_fma_f64 v[22:23], -v[22:23], v[36:37], v[30:31]
	v_div_fmas_f64 v[26:27], v[12:13], v[26:27], v[32:33]
	s_mov_b32 vcc_lo, s4
	s_delay_alu instid0(VALU_DEP_2) | instskip(SKIP_2) | instid1(VALU_DEP_3)
	v_div_fmas_f64 v[12:13], v[22:23], v[28:29], v[36:37]
	s_wait_loadcnt 0x0
	v_add_f64_e64 v[22:23], v[20:21], -v[8:9]
	v_div_fixup_f64 v[16:17], v[26:27], v[18:19], v[16:17]
	s_delay_alu instid0(VALU_DEP_3) | instskip(NEXT) | instid1(VALU_DEP_2)
	v_div_fixup_f64 v[12:13], v[12:13], v[18:19], v[10:11]
	v_cmp_eq_f64_e32 vcc_lo, 0, v[16:17]
	s_delay_alu instid0(VALU_DEP_2) | instskip(SKIP_1) | instid1(VALU_DEP_1)
	v_mul_f64_e32 v[18:19], v[14:15], v[12:13]
	s_and_b32 vcc_lo, exec_lo, vcc_lo
	v_fma_f64 v[18:19], v[16:17], v[22:23], -v[18:19]
	s_delay_alu instid0(VALU_DEP_1) | instskip(NEXT) | instid1(VALU_DEP_1)
	v_add_f64_e64 v[20:21], v[20:21], -v[18:19]
	v_add_f64_e32 v[14:15], v[14:15], v[20:21]
	global_store_b64 v24, v[14:15], s[52:53]
	s_cbranch_vccnz .LBB29_66
; %bb.65:                               ;   in Loop: Header=BB29_54 Depth=2
	v_mul_f64_e32 v[10:11], v[18:19], v[18:19]
	s_wait_xcnt 0x0
	s_delay_alu instid0(VALU_DEP_1) | instskip(NEXT) | instid1(VALU_DEP_1)
	v_div_scale_f64 v[14:15], null, v[16:17], v[16:17], v[10:11]
	v_rcp_f64_e32 v[20:21], v[14:15]
	v_nop
	s_delay_alu instid0(TRANS32_DEP_1) | instskip(NEXT) | instid1(VALU_DEP_1)
	v_fma_f64 v[22:23], -v[14:15], v[20:21], 1.0
	v_fmac_f64_e32 v[20:21], v[20:21], v[22:23]
	s_delay_alu instid0(VALU_DEP_1) | instskip(NEXT) | instid1(VALU_DEP_1)
	v_fma_f64 v[22:23], -v[14:15], v[20:21], 1.0
	v_fmac_f64_e32 v[20:21], v[20:21], v[22:23]
	v_div_scale_f64 v[22:23], vcc_lo, v[10:11], v[16:17], v[10:11]
	s_delay_alu instid0(VALU_DEP_1) | instskip(NEXT) | instid1(VALU_DEP_1)
	v_mul_f64_e32 v[26:27], v[22:23], v[20:21]
	v_fma_f64 v[14:15], -v[14:15], v[26:27], v[22:23]
	s_delay_alu instid0(VALU_DEP_1) | instskip(NEXT) | instid1(VALU_DEP_1)
	v_div_fmas_f64 v[14:15], v[14:15], v[20:21], v[26:27]
	v_div_fixup_f64 v[10:11], v[14:15], v[16:17], v[10:11]
.LBB29_66:                              ;   in Loop: Header=BB29_54 Depth=2
	s_add_co_i32 s4, s44, -1
	s_delay_alu instid0(SALU_CYCLE_1)
	s_cmp_le_i32 s4, s42
	s_cbranch_scc1 .LBB29_95
; %bb.67:                               ;   in Loop: Header=BB29_54 Depth=2
	s_wait_xcnt 0x0
	s_add_co_i32 s52, s44, -2
	s_mov_b32 s43, -1
	s_ashr_i32 s53, s52, 31
	s_delay_alu instid0(SALU_CYCLE_1) | instskip(NEXT) | instid1(SALU_CYCLE_1)
	s_lshl_b64 s[54:55], s[52:53], 3
	s_add_nc_u64 s[52:53], s[24:25], s[54:55]
	s_add_nc_u64 s[54:55], s[26:27], s[54:55]
	global_load_b64 v[20:21], v24, s[54:55] offset:-8
	s_cmp_eq_u32 s43, 0
	s_wait_loadcnt 0x0
	v_add_f64_e32 v[14:15], v[10:11], v[20:21]
	s_cbranch_scc1 .LBB29_69
.LBB29_68:                              ;   in Loop: Header=BB29_54 Depth=2
	s_delay_alu instid0(VALU_DEP_1)
	v_mul_f64_e32 v[12:13], v[12:13], v[14:15]
	global_store_b64 v24, v[12:13], s[54:55]
.LBB29_69:                              ;   Parent Loop BB29_3 Depth=1
                                        ;     Parent Loop BB29_54 Depth=2
                                        ; =>    This Inner Loop Header: Depth=3
	s_wait_xcnt 0x0
	s_delay_alu instid0(VALU_DEP_1)
	v_div_scale_f64 v[12:13], null, v[14:15], v[14:15], v[10:11]
	v_div_scale_f64 v[22:23], null, v[14:15], v[14:15], v[20:21]
	global_load_b64 v[26:27], v24, s[52:53] offset:-8
	v_div_scale_f64 v[36:37], vcc_lo, v[10:11], v[14:15], v[10:11]
	v_rcp_f64_e32 v[28:29], v[12:13]
	v_rcp_f64_e32 v[30:31], v[22:23]
	s_delay_alu instid0(TRANS32_DEP_2) | instskip(NEXT) | instid1(TRANS32_DEP_1)
	v_fma_f64 v[32:33], -v[12:13], v[28:29], 1.0
	v_fma_f64 v[34:35], -v[22:23], v[30:31], 1.0
	s_delay_alu instid0(VALU_DEP_2) | instskip(NEXT) | instid1(VALU_DEP_2)
	v_fmac_f64_e32 v[28:29], v[28:29], v[32:33]
	v_fmac_f64_e32 v[30:31], v[30:31], v[34:35]
	s_delay_alu instid0(VALU_DEP_2) | instskip(NEXT) | instid1(VALU_DEP_2)
	v_fma_f64 v[32:33], -v[12:13], v[28:29], 1.0
	v_fma_f64 v[34:35], -v[22:23], v[30:31], 1.0
	s_delay_alu instid0(VALU_DEP_2) | instskip(SKIP_1) | instid1(VALU_DEP_3)
	v_fmac_f64_e32 v[28:29], v[28:29], v[32:33]
	v_div_scale_f64 v[32:33], s4, v[20:21], v[14:15], v[20:21]
	v_fmac_f64_e32 v[30:31], v[30:31], v[34:35]
	s_delay_alu instid0(VALU_DEP_3) | instskip(NEXT) | instid1(VALU_DEP_2)
	v_mul_f64_e32 v[34:35], v[36:37], v[28:29]
	v_mul_f64_e32 v[38:39], v[32:33], v[30:31]
	s_delay_alu instid0(VALU_DEP_2) | instskip(NEXT) | instid1(VALU_DEP_2)
	v_fma_f64 v[12:13], -v[12:13], v[34:35], v[36:37]
	v_fma_f64 v[22:23], -v[22:23], v[38:39], v[32:33]
	s_delay_alu instid0(VALU_DEP_2) | instskip(SKIP_1) | instid1(VALU_DEP_2)
	v_div_fmas_f64 v[28:29], v[12:13], v[28:29], v[34:35]
	s_mov_b32 vcc_lo, s4
	v_div_fmas_f64 v[12:13], v[22:23], v[30:31], v[38:39]
	s_delay_alu instid0(VALU_DEP_2) | instskip(NEXT) | instid1(VALU_DEP_2)
	v_div_fixup_f64 v[22:23], v[28:29], v[14:15], v[10:11]
	v_div_fixup_f64 v[12:13], v[12:13], v[14:15], v[20:21]
	s_wait_loadcnt 0x0
	v_add_f64_e64 v[10:11], v[26:27], -v[8:9]
	s_delay_alu instid0(VALU_DEP_3) | instskip(NEXT) | instid1(VALU_DEP_3)
	v_cmp_eq_f64_e32 vcc_lo, 0, v[22:23]
	v_mul_f64_e32 v[14:15], v[18:19], v[12:13]
	s_and_b32 vcc_lo, exec_lo, vcc_lo
	s_delay_alu instid0(VALU_DEP_1) | instskip(NEXT) | instid1(VALU_DEP_1)
	v_fma_f64 v[14:15], v[22:23], v[10:11], -v[14:15]
	v_add_f64_e64 v[10:11], v[26:27], -v[14:15]
	s_delay_alu instid0(VALU_DEP_1)
	v_add_f64_e32 v[10:11], v[18:19], v[10:11]
	global_store_b64 v24, v[10:11], s[52:53]
	s_cbranch_vccz .LBB29_74
; %bb.70:                               ;   in Loop: Header=BB29_69 Depth=3
	s_wait_xcnt 0x0
	v_mul_f64_e32 v[10:11], v[16:17], v[20:21]
	s_cbranch_execnz .LBB29_72
.LBB29_71:                              ;   in Loop: Header=BB29_69 Depth=3
	s_wait_xcnt 0x0
	v_mul_f64_e32 v[10:11], v[14:15], v[14:15]
	s_delay_alu instid0(VALU_DEP_1) | instskip(NEXT) | instid1(VALU_DEP_1)
	v_div_scale_f64 v[16:17], null, v[22:23], v[22:23], v[10:11]
	v_rcp_f64_e32 v[18:19], v[16:17]
	v_nop
	s_delay_alu instid0(TRANS32_DEP_1) | instskip(NEXT) | instid1(VALU_DEP_1)
	v_fma_f64 v[20:21], -v[16:17], v[18:19], 1.0
	v_fmac_f64_e32 v[18:19], v[18:19], v[20:21]
	s_delay_alu instid0(VALU_DEP_1) | instskip(NEXT) | instid1(VALU_DEP_1)
	v_fma_f64 v[20:21], -v[16:17], v[18:19], 1.0
	v_fmac_f64_e32 v[18:19], v[18:19], v[20:21]
	v_div_scale_f64 v[20:21], vcc_lo, v[10:11], v[22:23], v[10:11]
	s_delay_alu instid0(VALU_DEP_1) | instskip(NEXT) | instid1(VALU_DEP_1)
	v_mul_f64_e32 v[26:27], v[20:21], v[18:19]
	v_fma_f64 v[16:17], -v[16:17], v[26:27], v[20:21]
	s_delay_alu instid0(VALU_DEP_1) | instskip(NEXT) | instid1(VALU_DEP_1)
	v_div_fmas_f64 v[16:17], v[16:17], v[18:19], v[26:27]
	v_div_fixup_f64 v[10:11], v[16:17], v[22:23], v[10:11]
.LBB29_72:                              ;   in Loop: Header=BB29_69 Depth=3
	s_add_co_i32 s43, s43, -1
	s_add_nc_u64 s[54:55], s[54:55], -8
	s_add_co_i32 s4, s44, s43
	s_wait_xcnt 0x0
	s_add_nc_u64 s[52:53], s[52:53], -8
	s_cmp_le_i32 s4, s42
	s_cbranch_scc1 .LBB29_96
; %bb.73:                               ;   in Loop: Header=BB29_69 Depth=3
	v_mov_b64_e32 v[16:17], v[22:23]
	v_mov_b64_e32 v[18:19], v[14:15]
	global_load_b64 v[20:21], v24, s[54:55] offset:-8
	s_cmp_eq_u32 s43, 0
	s_wait_loadcnt 0x0
	v_add_f64_e32 v[14:15], v[10:11], v[20:21]
	s_cbranch_scc0 .LBB29_68
	s_branch .LBB29_69
.LBB29_74:                              ;   in Loop: Header=BB29_69 Depth=3
                                        ; implicit-def: $vgpr10_vgpr11
	s_branch .LBB29_71
.LBB29_75:                              ;   in Loop: Header=BB29_54 Depth=2
	s_mov_b32 s42, s4
	s_cbranch_execz .LBB29_53
	s_branch .LBB29_99
.LBB29_76:                              ;   in Loop: Header=BB29_54 Depth=2
	s_mov_b32 s41, -1
	s_mov_b32 s4, 0
                                        ; implicit-def: $sgpr43
.LBB29_77:                              ;   in Loop: Header=BB29_54 Depth=2
	s_and_b32 vcc_lo, exec_lo, s41
	s_cbranch_vccz .LBB29_98
.LBB29_78:                              ;   in Loop: Header=BB29_54 Depth=2
	s_add_nc_u64 s[48:49], s[10:11], s[48:49]
	global_load_b64 v[8:9], v24, s[48:49]
	s_wait_loadcnt 0x0
	v_cmp_gt_f64_e32 vcc_lo, 0x10000000, v[8:9]
	s_and_b32 s4, vcc_lo, exec_lo
	s_cselect_b32 s4, 0x100, 0
	s_delay_alu instid0(SALU_CYCLE_1) | instskip(SKIP_1) | instid1(VALU_DEP_1)
	v_ldexp_f64 v[8:9], v[8:9], s4
	s_cselect_b32 s4, 0xffffff80, 0
	v_rsq_f64_e32 v[12:13], v[8:9]
	v_mov_b32_e32 v10, s44
	v_cmp_class_f64_e64 vcc_lo, v[8:9], 0x260
	s_delay_alu instid0(TRANS32_DEP_1) | instskip(SKIP_2) | instid1(VALU_DEP_1)
	v_mul_f64_e32 v[14:15], v[8:9], v[12:13]
	global_load_b64 v[10:11], v10, s[6:7] scale_offset
	v_mul_f64_e32 v[12:13], 0.5, v[12:13]
	v_fma_f64 v[16:17], -v[12:13], v[14:15], 0.5
	s_delay_alu instid0(VALU_DEP_1) | instskip(SKIP_1) | instid1(VALU_DEP_2)
	v_fmac_f64_e32 v[14:15], v[14:15], v[16:17]
	v_fmac_f64_e32 v[12:13], v[12:13], v[16:17]
	v_fma_f64 v[16:17], -v[14:15], v[14:15], v[8:9]
	s_delay_alu instid0(VALU_DEP_1) | instskip(NEXT) | instid1(VALU_DEP_1)
	v_fmac_f64_e32 v[14:15], v[16:17], v[12:13]
	v_fma_f64 v[16:17], -v[14:15], v[14:15], v[8:9]
	s_delay_alu instid0(VALU_DEP_1) | instskip(NEXT) | instid1(VALU_DEP_1)
	v_fmac_f64_e32 v[14:15], v[16:17], v[12:13]
	v_ldexp_f64 v[12:13], v[14:15], s4
	s_delay_alu instid0(VALU_DEP_1) | instskip(NEXT) | instid1(VALU_DEP_1)
	v_dual_cndmask_b32 v9, v13, v9 :: v_dual_cndmask_b32 v8, v12, v8
	v_add_f64_e32 v[16:17], v[8:9], v[8:9]
	s_wait_loadcnt 0x0
	v_add_f64_e64 v[14:15], v[6:7], -v[10:11]
	s_delay_alu instid0(VALU_DEP_1)
	v_cmp_ngt_f64_e64 s4, |v[14:15]|, |v[16:17]|
	s_and_b32 vcc_lo, exec_lo, s4
	s_cbranch_vccz .LBB29_81
; %bb.79:                               ;   in Loop: Header=BB29_54 Depth=2
	v_cmp_nlt_f64_e64 s4, |v[14:15]|, |v[16:17]|
	s_and_b32 vcc_lo, exec_lo, s4
	s_cbranch_vccz .LBB29_82
; %bb.80:                               ;   in Loop: Header=BB29_54 Depth=2
	v_mul_f64_e64 v[12:13], |v[16:17]|, s[20:21]
	s_cbranch_execz .LBB29_83
	s_branch .LBB29_84
.LBB29_81:                              ;   in Loop: Header=BB29_54 Depth=2
                                        ; implicit-def: $vgpr12_vgpr13
	s_branch .LBB29_85
.LBB29_82:                              ;   in Loop: Header=BB29_54 Depth=2
                                        ; implicit-def: $vgpr12_vgpr13
.LBB29_83:                              ;   in Loop: Header=BB29_54 Depth=2
	v_and_b32_e32 v13, 0x7fffffff, v15
	v_dual_mov_b32 v12, v14 :: v_dual_mov_b32 v18, v16
	v_and_b32_e32 v19, 0x7fffffff, v17
	s_delay_alu instid0(VALU_DEP_1) | instskip(SKIP_1) | instid1(VALU_DEP_2)
	v_div_scale_f64 v[20:21], null, v[18:19], v[18:19], v[12:13]
	v_div_scale_f64 v[12:13], vcc_lo, v[12:13], v[18:19], v[12:13]
	v_rcp_f64_e32 v[22:23], v[20:21]
	v_nop
	s_delay_alu instid0(TRANS32_DEP_1) | instskip(NEXT) | instid1(VALU_DEP_1)
	v_fma_f64 v[26:27], -v[20:21], v[22:23], 1.0
	v_fmac_f64_e32 v[22:23], v[22:23], v[26:27]
	s_delay_alu instid0(VALU_DEP_1) | instskip(NEXT) | instid1(VALU_DEP_1)
	v_fma_f64 v[26:27], -v[20:21], v[22:23], 1.0
	v_fmac_f64_e32 v[22:23], v[22:23], v[26:27]
	s_delay_alu instid0(VALU_DEP_1) | instskip(NEXT) | instid1(VALU_DEP_1)
	v_mul_f64_e32 v[18:19], v[12:13], v[22:23]
	v_fma_f64 v[12:13], -v[20:21], v[18:19], v[12:13]
	s_delay_alu instid0(VALU_DEP_1) | instskip(NEXT) | instid1(VALU_DEP_1)
	v_div_fmas_f64 v[12:13], v[12:13], v[22:23], v[18:19]
	v_div_fixup_f64 v[12:13], v[12:13], |v[16:17]|, |v[14:15]|
	s_delay_alu instid0(VALU_DEP_1) | instskip(NEXT) | instid1(VALU_DEP_1)
	v_fma_f64 v[12:13], v[12:13], v[12:13], 1.0
	v_cmp_gt_f64_e32 vcc_lo, 0x10000000, v[12:13]
	s_and_b32 s4, vcc_lo, exec_lo
	s_cselect_b32 s4, 0x100, 0
	s_delay_alu instid0(SALU_CYCLE_1) | instskip(SKIP_1) | instid1(VALU_DEP_1)
	v_ldexp_f64 v[12:13], v[12:13], s4
	s_cselect_b32 s4, 0xffffff80, 0
	v_rsq_f64_e32 v[18:19], v[12:13]
	v_cmp_class_f64_e64 vcc_lo, v[12:13], 0x260
	s_delay_alu instid0(TRANS32_DEP_1) | instskip(SKIP_1) | instid1(VALU_DEP_1)
	v_mul_f64_e32 v[20:21], v[12:13], v[18:19]
	v_mul_f64_e32 v[18:19], 0.5, v[18:19]
	v_fma_f64 v[22:23], -v[18:19], v[20:21], 0.5
	s_delay_alu instid0(VALU_DEP_1) | instskip(SKIP_1) | instid1(VALU_DEP_2)
	v_fmac_f64_e32 v[20:21], v[20:21], v[22:23]
	v_fmac_f64_e32 v[18:19], v[18:19], v[22:23]
	v_fma_f64 v[22:23], -v[20:21], v[20:21], v[12:13]
	s_delay_alu instid0(VALU_DEP_1) | instskip(NEXT) | instid1(VALU_DEP_1)
	v_fmac_f64_e32 v[20:21], v[22:23], v[18:19]
	v_fma_f64 v[22:23], -v[20:21], v[20:21], v[12:13]
	s_delay_alu instid0(VALU_DEP_1) | instskip(NEXT) | instid1(VALU_DEP_1)
	v_fmac_f64_e32 v[20:21], v[22:23], v[18:19]
	v_ldexp_f64 v[18:19], v[20:21], s4
	s_delay_alu instid0(VALU_DEP_1) | instskip(NEXT) | instid1(VALU_DEP_1)
	v_dual_cndmask_b32 v13, v19, v13 :: v_dual_cndmask_b32 v12, v18, v12
	v_mul_f64_e64 v[12:13], |v[16:17]|, v[12:13]
.LBB29_84:                              ;   in Loop: Header=BB29_54 Depth=2
	s_cbranch_execnz .LBB29_86
.LBB29_85:                              ;   in Loop: Header=BB29_54 Depth=2
	v_and_b32_e32 v13, 0x7fffffff, v17
	v_dual_mov_b32 v12, v16 :: v_dual_mov_b32 v18, v14
	v_and_b32_e32 v19, 0x7fffffff, v15
	s_delay_alu instid0(VALU_DEP_1) | instskip(SKIP_1) | instid1(VALU_DEP_2)
	v_div_scale_f64 v[20:21], null, v[18:19], v[18:19], v[12:13]
	v_div_scale_f64 v[12:13], vcc_lo, v[12:13], v[18:19], v[12:13]
	v_rcp_f64_e32 v[22:23], v[20:21]
	v_nop
	s_delay_alu instid0(TRANS32_DEP_1) | instskip(NEXT) | instid1(VALU_DEP_1)
	v_fma_f64 v[26:27], -v[20:21], v[22:23], 1.0
	v_fmac_f64_e32 v[22:23], v[22:23], v[26:27]
	s_delay_alu instid0(VALU_DEP_1) | instskip(NEXT) | instid1(VALU_DEP_1)
	v_fma_f64 v[26:27], -v[20:21], v[22:23], 1.0
	v_fmac_f64_e32 v[22:23], v[22:23], v[26:27]
	s_delay_alu instid0(VALU_DEP_1) | instskip(NEXT) | instid1(VALU_DEP_1)
	v_mul_f64_e32 v[18:19], v[12:13], v[22:23]
	v_fma_f64 v[12:13], -v[20:21], v[18:19], v[12:13]
	s_delay_alu instid0(VALU_DEP_1) | instskip(NEXT) | instid1(VALU_DEP_1)
	v_div_fmas_f64 v[12:13], v[12:13], v[22:23], v[18:19]
	v_div_fixup_f64 v[12:13], v[12:13], |v[14:15]|, |v[16:17]|
	s_delay_alu instid0(VALU_DEP_1) | instskip(NEXT) | instid1(VALU_DEP_1)
	v_fma_f64 v[12:13], v[12:13], v[12:13], 1.0
	v_cmp_gt_f64_e32 vcc_lo, 0x10000000, v[12:13]
	s_and_b32 s4, vcc_lo, exec_lo
	s_cselect_b32 s4, 0x100, 0
	s_delay_alu instid0(SALU_CYCLE_1) | instskip(SKIP_1) | instid1(VALU_DEP_1)
	v_ldexp_f64 v[12:13], v[12:13], s4
	s_cselect_b32 s4, 0xffffff80, 0
	v_rsq_f64_e32 v[16:17], v[12:13]
	v_cmp_class_f64_e64 vcc_lo, v[12:13], 0x260
	s_delay_alu instid0(TRANS32_DEP_1) | instskip(SKIP_1) | instid1(VALU_DEP_1)
	v_mul_f64_e32 v[18:19], v[12:13], v[16:17]
	v_mul_f64_e32 v[16:17], 0.5, v[16:17]
	v_fma_f64 v[20:21], -v[16:17], v[18:19], 0.5
	s_delay_alu instid0(VALU_DEP_1) | instskip(SKIP_1) | instid1(VALU_DEP_2)
	v_fmac_f64_e32 v[18:19], v[18:19], v[20:21]
	v_fmac_f64_e32 v[16:17], v[16:17], v[20:21]
	v_fma_f64 v[20:21], -v[18:19], v[18:19], v[12:13]
	s_delay_alu instid0(VALU_DEP_1) | instskip(NEXT) | instid1(VALU_DEP_1)
	v_fmac_f64_e32 v[18:19], v[20:21], v[16:17]
	v_fma_f64 v[20:21], -v[18:19], v[18:19], v[12:13]
	s_delay_alu instid0(VALU_DEP_1) | instskip(NEXT) | instid1(VALU_DEP_1)
	v_fmac_f64_e32 v[18:19], v[20:21], v[16:17]
	v_ldexp_f64 v[16:17], v[18:19], s4
	s_delay_alu instid0(VALU_DEP_1) | instskip(NEXT) | instid1(VALU_DEP_1)
	v_dual_cndmask_b32 v13, v17, v13 :: v_dual_cndmask_b32 v12, v16, v12
	v_mul_f64_e64 v[12:13], |v[14:15]|, v[12:13]
.LBB29_86:                              ;   in Loop: Header=BB29_54 Depth=2
	v_add_f64_e32 v[16:17], v[6:7], v[10:11]
	v_cmp_gt_f64_e64 vcc_lo, |v[6:7]|, |v[10:11]|
	s_delay_alu instid0(VALU_DEP_2)
	v_cmp_ngt_f64_e64 s4, 0, v[16:17]
	v_dual_cndmask_b32 v15, v7, v11 :: v_dual_cndmask_b32 v14, v6, v10
	v_dual_cndmask_b32 v7, v11, v7 :: v_dual_cndmask_b32 v6, v10, v6
	s_and_b32 vcc_lo, exec_lo, s4
	s_cbranch_vccz .LBB29_89
; %bb.87:                               ;   in Loop: Header=BB29_54 Depth=2
	v_cmp_nlt_f64_e32 vcc_lo, 0, v[16:17]
	s_cbranch_vccz .LBB29_90
; %bb.88:                               ;   in Loop: Header=BB29_54 Depth=2
	s_wait_xcnt 0x0
	v_mul_f64_e32 v[10:11], 0.5, v[12:13]
	v_mul_f64_e32 v[18:19], -0.5, v[12:13]
	s_cbranch_execz .LBB29_91
	s_branch .LBB29_92
.LBB29_89:                              ;   in Loop: Header=BB29_54 Depth=2
                                        ; implicit-def: $vgpr18_vgpr19
                                        ; implicit-def: $vgpr10_vgpr11
	s_branch .LBB29_93
.LBB29_90:                              ;   in Loop: Header=BB29_54 Depth=2
                                        ; implicit-def: $vgpr18_vgpr19
                                        ; implicit-def: $vgpr10_vgpr11
.LBB29_91:                              ;   in Loop: Header=BB29_54 Depth=2
	s_wait_xcnt 0x0
	v_add_f64_e32 v[10:11], v[16:17], v[12:13]
	s_delay_alu instid0(VALU_DEP_1) | instskip(NEXT) | instid1(VALU_DEP_1)
	v_mul_f64_e32 v[10:11], 0.5, v[10:11]
	v_div_scale_f64 v[18:19], null, v[10:11], v[10:11], v[6:7]
	v_div_scale_f64 v[20:21], null, v[10:11], v[10:11], v[8:9]
	v_div_scale_f64 v[32:33], vcc_lo, v[6:7], v[10:11], v[6:7]
	s_delay_alu instid0(VALU_DEP_3) | instskip(NEXT) | instid1(VALU_DEP_2)
	v_rcp_f64_e32 v[22:23], v[18:19]
	v_rcp_f64_e32 v[26:27], v[20:21]
	s_delay_alu instid0(TRANS32_DEP_2) | instskip(NEXT) | instid1(TRANS32_DEP_1)
	v_fma_f64 v[28:29], -v[18:19], v[22:23], 1.0
	v_fma_f64 v[30:31], -v[20:21], v[26:27], 1.0
	s_delay_alu instid0(VALU_DEP_2) | instskip(NEXT) | instid1(VALU_DEP_2)
	v_fmac_f64_e32 v[22:23], v[22:23], v[28:29]
	v_fmac_f64_e32 v[26:27], v[26:27], v[30:31]
	s_delay_alu instid0(VALU_DEP_2) | instskip(NEXT) | instid1(VALU_DEP_2)
	v_fma_f64 v[28:29], -v[18:19], v[22:23], 1.0
	v_fma_f64 v[30:31], -v[20:21], v[26:27], 1.0
	s_delay_alu instid0(VALU_DEP_2) | instskip(SKIP_1) | instid1(VALU_DEP_3)
	v_fmac_f64_e32 v[22:23], v[22:23], v[28:29]
	v_div_scale_f64 v[28:29], s4, v[8:9], v[10:11], v[8:9]
	v_fmac_f64_e32 v[26:27], v[26:27], v[30:31]
	s_delay_alu instid0(VALU_DEP_3) | instskip(NEXT) | instid1(VALU_DEP_2)
	v_mul_f64_e32 v[30:31], v[32:33], v[22:23]
	v_mul_f64_e32 v[34:35], v[28:29], v[26:27]
	s_delay_alu instid0(VALU_DEP_2) | instskip(NEXT) | instid1(VALU_DEP_2)
	v_fma_f64 v[18:19], -v[18:19], v[30:31], v[32:33]
	v_fma_f64 v[20:21], -v[20:21], v[34:35], v[28:29]
	s_delay_alu instid0(VALU_DEP_2) | instskip(SKIP_1) | instid1(VALU_DEP_2)
	v_div_fmas_f64 v[18:19], v[18:19], v[22:23], v[30:31]
	s_mov_b32 vcc_lo, s4
	v_div_fmas_f64 v[20:21], v[20:21], v[26:27], v[34:35]
	s_delay_alu instid0(VALU_DEP_2) | instskip(NEXT) | instid1(VALU_DEP_2)
	v_div_fixup_f64 v[18:19], v[18:19], v[10:11], v[6:7]
	v_div_fixup_f64 v[20:21], v[20:21], v[10:11], v[8:9]
	s_delay_alu instid0(VALU_DEP_1) | instskip(NEXT) | instid1(VALU_DEP_1)
	v_mul_f64_e32 v[20:21], v[8:9], v[20:21]
	v_fma_f64 v[18:19], v[14:15], v[18:19], -v[20:21]
.LBB29_92:                              ;   in Loop: Header=BB29_54 Depth=2
	s_cbranch_execnz .LBB29_94
.LBB29_93:                              ;   in Loop: Header=BB29_54 Depth=2
	s_wait_xcnt 0x0
	v_add_f64_e64 v[10:11], v[16:17], -v[12:13]
	s_delay_alu instid0(VALU_DEP_1) | instskip(NEXT) | instid1(VALU_DEP_1)
	v_mul_f64_e32 v[10:11], 0.5, v[10:11]
	v_div_scale_f64 v[12:13], null, v[10:11], v[10:11], v[6:7]
	v_div_scale_f64 v[16:17], null, v[10:11], v[10:11], v[8:9]
	v_div_scale_f64 v[28:29], vcc_lo, v[6:7], v[10:11], v[6:7]
	s_delay_alu instid0(VALU_DEP_3) | instskip(NEXT) | instid1(VALU_DEP_2)
	v_rcp_f64_e32 v[18:19], v[12:13]
	v_rcp_f64_e32 v[20:21], v[16:17]
	s_delay_alu instid0(TRANS32_DEP_2) | instskip(NEXT) | instid1(TRANS32_DEP_1)
	v_fma_f64 v[22:23], -v[12:13], v[18:19], 1.0
	v_fma_f64 v[26:27], -v[16:17], v[20:21], 1.0
	s_delay_alu instid0(VALU_DEP_2) | instskip(NEXT) | instid1(VALU_DEP_2)
	v_fmac_f64_e32 v[18:19], v[18:19], v[22:23]
	v_fmac_f64_e32 v[20:21], v[20:21], v[26:27]
	s_delay_alu instid0(VALU_DEP_2) | instskip(NEXT) | instid1(VALU_DEP_2)
	v_fma_f64 v[22:23], -v[12:13], v[18:19], 1.0
	v_fma_f64 v[26:27], -v[16:17], v[20:21], 1.0
	s_delay_alu instid0(VALU_DEP_2) | instskip(SKIP_1) | instid1(VALU_DEP_3)
	v_fmac_f64_e32 v[18:19], v[18:19], v[22:23]
	v_div_scale_f64 v[22:23], s4, v[8:9], v[10:11], v[8:9]
	v_fmac_f64_e32 v[20:21], v[20:21], v[26:27]
	s_delay_alu instid0(VALU_DEP_3) | instskip(NEXT) | instid1(VALU_DEP_2)
	v_mul_f64_e32 v[26:27], v[28:29], v[18:19]
	v_mul_f64_e32 v[30:31], v[22:23], v[20:21]
	s_delay_alu instid0(VALU_DEP_2) | instskip(NEXT) | instid1(VALU_DEP_2)
	v_fma_f64 v[12:13], -v[12:13], v[26:27], v[28:29]
	v_fma_f64 v[16:17], -v[16:17], v[30:31], v[22:23]
	s_delay_alu instid0(VALU_DEP_2) | instskip(SKIP_1) | instid1(VALU_DEP_2)
	v_div_fmas_f64 v[12:13], v[12:13], v[18:19], v[26:27]
	s_mov_b32 vcc_lo, s4
	v_div_fmas_f64 v[16:17], v[16:17], v[20:21], v[30:31]
	s_delay_alu instid0(VALU_DEP_2) | instskip(NEXT) | instid1(VALU_DEP_2)
	v_div_fixup_f64 v[6:7], v[12:13], v[10:11], v[6:7]
	v_div_fixup_f64 v[16:17], v[16:17], v[10:11], v[8:9]
	s_delay_alu instid0(VALU_DEP_1) | instskip(NEXT) | instid1(VALU_DEP_1)
	v_mul_f64_e32 v[8:9], v[8:9], v[16:17]
	v_fma_f64 v[18:19], v[14:15], v[6:7], -v[8:9]
.LBB29_94:                              ;   in Loop: Header=BB29_54 Depth=2
	s_ashr_i32 s45, s44, 31
	global_store_b64 v24, v[10:11], s[46:47]
	s_lshl_b64 s[44:45], s[44:45], 3
	s_add_co_i32 s42, s42, 2
	s_add_nc_u64 s[44:45], s[6:7], s[44:45]
	s_clause 0x1
	global_store_b64 v24, v[18:19], s[44:45]
	global_store_b64 v24, v[2:3], s[48:49]
	s_cbranch_execz .LBB29_53
	s_branch .LBB29_99
.LBB29_95:                              ;   in Loop: Header=BB29_54 Depth=2
	s_wait_xcnt 0x0
	v_mov_b64_e32 v[14:15], v[18:19]
.LBB29_96:                              ;   in Loop: Header=BB29_54 Depth=2
	s_delay_alu instid0(VALU_DEP_1)
	v_mov_b64_e32 v[16:17], v[10:11]
.LBB29_97:                              ;   in Loop: Header=BB29_54 Depth=2
	s_delay_alu instid0(VALU_DEP_1) | instskip(NEXT) | instid1(VALU_DEP_3)
	v_mul_f64_e32 v[10:11], v[12:13], v[16:17]
	v_add_f64_e32 v[8:9], v[8:9], v[14:15]
	s_add_co_i32 s43, s59, 1
	s_mov_b32 s4, -1
	s_clause 0x1
	global_store_b64 v24, v[10:11], s[50:51]
	global_store_b64 v24, v[8:9], s[46:47]
	s_and_b32 vcc_lo, exec_lo, s41
	s_cbranch_vccnz .LBB29_78
.LBB29_98:                              ;   in Loop: Header=BB29_54 Depth=2
	s_mov_b32 s59, s43
	s_and_b32 vcc_lo, exec_lo, s4
	s_cbranch_vccz .LBB29_53
.LBB29_99:                              ;   in Loop: Header=BB29_54 Depth=2
	s_cmp_gt_i32 s42, s31
	s_cselect_b32 s4, -1, 0
	s_cmp_ge_i32 s59, s56
	s_cselect_b32 s5, -1, 0
	s_delay_alu instid0(SALU_CYCLE_1)
	s_or_b32 s5, s4, s5
	s_branch .LBB29_53
.LBB29_100:                             ;   in Loop: Header=BB29_101 Depth=2
	s_and_not1_b32 vcc_lo, exec_lo, s41
	s_cbranch_vccz .LBB29_43
.LBB29_101:                             ;   Parent Loop BB29_3 Depth=1
                                        ; =>  This Loop Header: Depth=2
                                        ;       Child Loop BB29_103 Depth 3
                                        ;       Child Loop BB29_116 Depth 3
	s_ashr_i32 s41, s40, 31
	s_wait_xcnt 0x0
	s_min_i32 s4, s31, s40
	s_wait_xcnt 0x1
	s_lshl_b64 s[44:45], s[40:41], 3
	s_mov_b32 s3, s40
	s_wait_xcnt 0x0
	s_add_nc_u64 s[46:47], s[6:7], s[44:45]
	s_add_nc_u64 s[42:43], s[26:27], s[44:45]
	s_mov_b32 s5, -1
	s_cmp_le_i32 s3, s31
	s_mov_b32 s48, -1
                                        ; implicit-def: $sgpr41
	s_cbranch_scc1 .LBB29_103
.LBB29_102:                             ;   in Loop: Header=BB29_101 Depth=2
	s_wait_loadcnt 0x0
	s_clause 0x1
	global_load_b128 v[6:9], v24, s[46:47] offset:-8
	global_load_b64 v[10:11], v24, s[42:43] offset:-16
	s_add_co_i32 s41, s3, -1
	s_wait_xcnt 0x1
	s_add_nc_u64 s[46:47], s[46:47], -8
	s_wait_xcnt 0x0
	s_add_nc_u64 s[42:43], s[42:43], -8
	s_mov_b32 s5, 0
	s_wait_loadcnt 0x1
	v_mul_f64_e32 v[6:7], v[8:9], v[6:7]
	s_delay_alu instid0(VALU_DEP_1) | instskip(SKIP_1) | instid1(VALU_DEP_1)
	v_mul_f64_e64 v[6:7], v[0:1], |v[6:7]|
	s_wait_loadcnt 0x0
	v_cmp_le_f64_e64 s48, |v[10:11]|, v[6:7]
.LBB29_103:                             ;   Parent Loop BB29_3 Depth=1
                                        ;     Parent Loop BB29_101 Depth=2
                                        ; =>    This Inner Loop Header: Depth=3
	s_delay_alu instid0(VALU_DEP_1)
	s_and_not1_b32 vcc_lo, exec_lo, s48
	s_cbranch_vccz .LBB29_105
; %bb.104:                              ;   in Loop: Header=BB29_103 Depth=3
	s_mov_b32 s3, s41
	s_mov_b32 s5, -1
	s_cmp_le_i32 s3, s31
	s_mov_b32 s48, -1
                                        ; implicit-def: $sgpr41
	s_cbranch_scc0 .LBB29_102
	s_branch .LBB29_103
.LBB29_105:                             ;   in Loop: Header=BB29_101 Depth=2
	s_and_not1_b32 vcc_lo, exec_lo, s5
	s_cbranch_vccz .LBB29_107
; %bb.106:                              ;   in Loop: Header=BB29_101 Depth=2
	s_mov_b32 s4, s3
	global_store_b64 v24, v[2:3], s[42:43] offset:-8
.LBB29_107:                             ;   in Loop: Header=BB29_101 Depth=2
	s_add_co_i32 s3, s40, -1
	s_cmp_eq_u32 s4, s40
	s_mov_b32 s41, -1
	s_cbranch_scc1 .LBB29_122
; %bb.108:                              ;   in Loop: Header=BB29_101 Depth=2
	s_wait_xcnt 0x0
	s_add_nc_u64 s[42:43], s[6:7], s[44:45]
	s_cmp_lg_u32 s4, s3
	s_wait_loadcnt 0x0
	global_load_b64 v[6:7], v24, s[42:43]
	s_cbranch_scc0 .LBB29_123
; %bb.109:                              ;   in Loop: Header=BB29_101 Depth=2
	s_mov_b32 s50, 0
	s_cmp_lg_u32 s58, s56
	s_mov_b32 s5, s56
	s_mov_b32 s3, 0
	s_cbranch_scc0 .LBB29_124
; %bb.110:                              ;   in Loop: Header=BB29_101 Depth=2
	s_add_nc_u64 s[44:45], s[10:11], s[44:45]
	s_clause 0x1
	global_load_b64 v[8:9], v24, s[44:45] offset:-8
	global_load_b64 v[10:11], v24, s[42:43] offset:-8
	s_wait_loadcnt 0x1
	v_cmp_gt_f64_e32 vcc_lo, 0x10000000, v[8:9]
	s_wait_loadcnt 0x0
	v_add_f64_e64 v[10:11], v[10:11], -v[6:7]
	s_and_b32 s3, vcc_lo, exec_lo
	s_cselect_b32 s3, 0x100, 0
	s_delay_alu instid0(SALU_CYCLE_1) | instskip(SKIP_1) | instid1(VALU_DEP_1)
	v_ldexp_f64 v[8:9], v[8:9], s3
	s_cselect_b32 s3, 0xffffff80, 0
	v_rsq_f64_e32 v[12:13], v[8:9]
	v_cmp_class_f64_e64 vcc_lo, v[8:9], 0x260
	s_delay_alu instid0(TRANS32_DEP_1) | instskip(SKIP_1) | instid1(VALU_DEP_1)
	v_mul_f64_e32 v[14:15], v[8:9], v[12:13]
	v_mul_f64_e32 v[12:13], 0.5, v[12:13]
	v_fma_f64 v[16:17], -v[12:13], v[14:15], 0.5
	s_delay_alu instid0(VALU_DEP_1) | instskip(SKIP_1) | instid1(VALU_DEP_2)
	v_fmac_f64_e32 v[14:15], v[14:15], v[16:17]
	v_fmac_f64_e32 v[12:13], v[12:13], v[16:17]
	v_fma_f64 v[16:17], -v[14:15], v[14:15], v[8:9]
	s_delay_alu instid0(VALU_DEP_1) | instskip(NEXT) | instid1(VALU_DEP_1)
	v_fmac_f64_e32 v[14:15], v[16:17], v[12:13]
	v_fma_f64 v[16:17], -v[14:15], v[14:15], v[8:9]
	s_delay_alu instid0(VALU_DEP_1) | instskip(NEXT) | instid1(VALU_DEP_1)
	v_fmac_f64_e32 v[14:15], v[16:17], v[12:13]
	v_ldexp_f64 v[12:13], v[14:15], s3
	s_delay_alu instid0(VALU_DEP_1) | instskip(NEXT) | instid1(VALU_DEP_1)
	v_dual_cndmask_b32 v9, v13, v9 :: v_dual_cndmask_b32 v8, v12, v8
	v_add_f64_e32 v[12:13], v[8:9], v[8:9]
	s_delay_alu instid0(VALU_DEP_1) | instskip(SKIP_1) | instid1(VALU_DEP_2)
	v_div_scale_f64 v[14:15], null, v[12:13], v[12:13], v[10:11]
	v_div_scale_f64 v[20:21], vcc_lo, v[10:11], v[12:13], v[10:11]
	v_rcp_f64_e32 v[16:17], v[14:15]
	v_nop
	s_delay_alu instid0(TRANS32_DEP_1) | instskip(NEXT) | instid1(VALU_DEP_1)
	v_fma_f64 v[18:19], -v[14:15], v[16:17], 1.0
	v_fmac_f64_e32 v[16:17], v[16:17], v[18:19]
	s_delay_alu instid0(VALU_DEP_1) | instskip(NEXT) | instid1(VALU_DEP_1)
	v_fma_f64 v[18:19], -v[14:15], v[16:17], 1.0
	v_fmac_f64_e32 v[16:17], v[16:17], v[18:19]
	s_delay_alu instid0(VALU_DEP_1) | instskip(NEXT) | instid1(VALU_DEP_1)
	v_mul_f64_e32 v[18:19], v[20:21], v[16:17]
	v_fma_f64 v[14:15], -v[14:15], v[18:19], v[20:21]
	s_delay_alu instid0(VALU_DEP_1) | instskip(NEXT) | instid1(VALU_DEP_1)
	v_div_fmas_f64 v[14:15], v[14:15], v[16:17], v[18:19]
	v_div_fixup_f64 v[10:11], v[14:15], v[12:13], v[10:11]
	s_delay_alu instid0(VALU_DEP_1) | instskip(NEXT) | instid1(VALU_DEP_1)
	v_fma_f64 v[12:13], v[10:11], v[10:11], 1.0
	v_cmp_gt_f64_e32 vcc_lo, 0x10000000, v[12:13]
	s_and_b32 s3, vcc_lo, exec_lo
	s_cselect_b32 s3, 0x100, 0
	s_delay_alu instid0(SALU_CYCLE_1) | instskip(SKIP_2) | instid1(VALU_DEP_1)
	v_ldexp_f64 v[12:13], v[12:13], s3
	s_cselect_b32 s3, 0xffffff80, 0
	s_cmp_ge_i32 s4, s40
	v_rsq_f64_e32 v[14:15], v[12:13]
	v_cmp_class_f64_e64 vcc_lo, v[12:13], 0x260
	s_delay_alu instid0(TRANS32_DEP_1) | instskip(SKIP_1) | instid1(VALU_DEP_1)
	v_mul_f64_e32 v[16:17], v[12:13], v[14:15]
	v_mul_f64_e32 v[14:15], 0.5, v[14:15]
	v_fma_f64 v[18:19], -v[14:15], v[16:17], 0.5
	s_delay_alu instid0(VALU_DEP_1) | instskip(SKIP_1) | instid1(VALU_DEP_2)
	v_fmac_f64_e32 v[16:17], v[16:17], v[18:19]
	v_fmac_f64_e32 v[14:15], v[14:15], v[18:19]
	v_fma_f64 v[18:19], -v[16:17], v[16:17], v[12:13]
	s_delay_alu instid0(VALU_DEP_1) | instskip(NEXT) | instid1(VALU_DEP_1)
	v_fmac_f64_e32 v[16:17], v[18:19], v[14:15]
	v_fma_f64 v[18:19], -v[16:17], v[16:17], v[12:13]
	s_delay_alu instid0(VALU_DEP_1) | instskip(NEXT) | instid1(VALU_DEP_1)
	v_fmac_f64_e32 v[16:17], v[18:19], v[14:15]
	v_ldexp_f64 v[14:15], v[16:17], s3
	v_mov_b32_e32 v16, s4
	global_load_b64 v[16:17], v16, s[6:7] scale_offset
	v_cndmask_b32_e32 v13, v15, v13, vcc_lo
	s_delay_alu instid0(VALU_DEP_1) | instskip(SKIP_3) | instid1(VALU_DEP_3)
	v_and_b32_e32 v15, 0x7fffffff, v13
	v_or_b32_e32 v13, 0x80000000, v13
	v_cndmask_b32_e32 v12, v14, v12, vcc_lo
	v_cmp_nle_f64_e32 vcc_lo, 0, v[10:11]
	v_cndmask_b32_e32 v13, v15, v13, vcc_lo
	s_delay_alu instid0(VALU_DEP_1) | instskip(NEXT) | instid1(VALU_DEP_1)
	v_add_f64_e32 v[10:11], v[10:11], v[12:13]
	v_div_scale_f64 v[12:13], null, v[10:11], v[10:11], v[8:9]
	s_delay_alu instid0(VALU_DEP_1) | instskip(SKIP_1) | instid1(TRANS32_DEP_1)
	v_rcp_f64_e32 v[14:15], v[12:13]
	v_nop
	v_fma_f64 v[18:19], -v[12:13], v[14:15], 1.0
	s_delay_alu instid0(VALU_DEP_1) | instskip(NEXT) | instid1(VALU_DEP_1)
	v_fmac_f64_e32 v[14:15], v[14:15], v[18:19]
	v_fma_f64 v[18:19], -v[12:13], v[14:15], 1.0
	s_delay_alu instid0(VALU_DEP_1) | instskip(SKIP_1) | instid1(VALU_DEP_1)
	v_fmac_f64_e32 v[14:15], v[14:15], v[18:19]
	v_div_scale_f64 v[18:19], vcc_lo, v[8:9], v[10:11], v[8:9]
	v_mul_f64_e32 v[20:21], v[18:19], v[14:15]
	s_delay_alu instid0(VALU_DEP_1) | instskip(NEXT) | instid1(VALU_DEP_1)
	v_fma_f64 v[12:13], -v[12:13], v[20:21], v[18:19]
	v_div_fmas_f64 v[12:13], v[12:13], v[14:15], v[20:21]
	s_delay_alu instid0(VALU_DEP_1) | instskip(SKIP_1) | instid1(VALU_DEP_2)
	v_div_fixup_f64 v[8:9], v[12:13], v[10:11], v[8:9]
	v_mov_b64_e32 v[12:13], 0
	v_add_f64_e64 v[8:9], v[6:7], -v[8:9]
	s_wait_loadcnt 0x0
	s_delay_alu instid0(VALU_DEP_1) | instskip(SKIP_1) | instid1(VALU_DEP_1)
	v_add_f64_e64 v[14:15], v[16:17], -v[8:9]
	s_wait_xcnt 0x0
	v_mul_f64_e32 v[16:17], v[14:15], v[14:15]
	s_cbranch_scc1 .LBB29_144
; %bb.111:                              ;   in Loop: Header=BB29_101 Depth=2
	s_ashr_i32 s5, s4, 31
	s_delay_alu instid0(SALU_CYCLE_1) | instskip(NEXT) | instid1(SALU_CYCLE_1)
	s_lshl_b64 s[46:47], s[4:5], 3
	s_add_nc_u64 s[48:49], s[10:11], s[46:47]
	s_add_nc_u64 s[46:47], s[6:7], s[46:47]
	s_clause 0x1
	global_load_b64 v[10:11], v24, s[48:49]
	global_load_b64 v[20:21], v24, s[46:47] offset:8
	s_wait_loadcnt 0x1
	v_add_f64_e32 v[18:19], v[16:17], v[10:11]
	s_delay_alu instid0(VALU_DEP_1) | instskip(SKIP_2) | instid1(VALU_DEP_3)
	v_div_scale_f64 v[12:13], null, v[18:19], v[18:19], v[16:17]
	v_div_scale_f64 v[22:23], null, v[18:19], v[18:19], v[10:11]
	v_div_scale_f64 v[34:35], vcc_lo, v[16:17], v[18:19], v[16:17]
	v_rcp_f64_e32 v[26:27], v[12:13]
	s_delay_alu instid0(VALU_DEP_2) | instskip(NEXT) | instid1(TRANS32_DEP_2)
	v_rcp_f64_e32 v[28:29], v[22:23]
	v_fma_f64 v[30:31], -v[12:13], v[26:27], 1.0
	s_delay_alu instid0(TRANS32_DEP_1) | instskip(NEXT) | instid1(VALU_DEP_2)
	v_fma_f64 v[32:33], -v[22:23], v[28:29], 1.0
	v_fmac_f64_e32 v[26:27], v[26:27], v[30:31]
	s_delay_alu instid0(VALU_DEP_2) | instskip(NEXT) | instid1(VALU_DEP_2)
	v_fmac_f64_e32 v[28:29], v[28:29], v[32:33]
	v_fma_f64 v[30:31], -v[12:13], v[26:27], 1.0
	s_delay_alu instid0(VALU_DEP_2) | instskip(NEXT) | instid1(VALU_DEP_2)
	v_fma_f64 v[32:33], -v[22:23], v[28:29], 1.0
	v_fmac_f64_e32 v[26:27], v[26:27], v[30:31]
	v_div_scale_f64 v[30:31], s3, v[10:11], v[18:19], v[10:11]
	s_delay_alu instid0(VALU_DEP_3) | instskip(NEXT) | instid1(VALU_DEP_3)
	v_fmac_f64_e32 v[28:29], v[28:29], v[32:33]
	v_mul_f64_e32 v[32:33], v[34:35], v[26:27]
	s_delay_alu instid0(VALU_DEP_2) | instskip(NEXT) | instid1(VALU_DEP_2)
	v_mul_f64_e32 v[36:37], v[30:31], v[28:29]
	v_fma_f64 v[12:13], -v[12:13], v[32:33], v[34:35]
	s_delay_alu instid0(VALU_DEP_2) | instskip(NEXT) | instid1(VALU_DEP_2)
	v_fma_f64 v[22:23], -v[22:23], v[36:37], v[30:31]
	v_div_fmas_f64 v[26:27], v[12:13], v[26:27], v[32:33]
	s_mov_b32 vcc_lo, s3
	s_delay_alu instid0(VALU_DEP_2) | instskip(SKIP_2) | instid1(VALU_DEP_3)
	v_div_fmas_f64 v[12:13], v[22:23], v[28:29], v[36:37]
	s_wait_loadcnt 0x0
	v_add_f64_e64 v[22:23], v[20:21], -v[8:9]
	v_div_fixup_f64 v[16:17], v[26:27], v[18:19], v[16:17]
	s_delay_alu instid0(VALU_DEP_3) | instskip(NEXT) | instid1(VALU_DEP_2)
	v_div_fixup_f64 v[12:13], v[12:13], v[18:19], v[10:11]
	v_cmp_eq_f64_e32 vcc_lo, 0, v[16:17]
	s_delay_alu instid0(VALU_DEP_2) | instskip(SKIP_1) | instid1(VALU_DEP_1)
	v_mul_f64_e32 v[18:19], v[14:15], v[12:13]
	s_and_b32 vcc_lo, exec_lo, vcc_lo
	v_fma_f64 v[18:19], v[16:17], v[22:23], -v[18:19]
	s_delay_alu instid0(VALU_DEP_1) | instskip(NEXT) | instid1(VALU_DEP_1)
	v_add_f64_e64 v[20:21], v[20:21], -v[18:19]
	v_add_f64_e32 v[14:15], v[14:15], v[20:21]
	global_store_b64 v24, v[14:15], s[46:47]
	s_cbranch_vccnz .LBB29_113
; %bb.112:                              ;   in Loop: Header=BB29_101 Depth=2
	v_mul_f64_e32 v[10:11], v[18:19], v[18:19]
	s_wait_xcnt 0x0
	s_delay_alu instid0(VALU_DEP_1) | instskip(NEXT) | instid1(VALU_DEP_1)
	v_div_scale_f64 v[14:15], null, v[16:17], v[16:17], v[10:11]
	v_rcp_f64_e32 v[20:21], v[14:15]
	v_nop
	s_delay_alu instid0(TRANS32_DEP_1) | instskip(NEXT) | instid1(VALU_DEP_1)
	v_fma_f64 v[22:23], -v[14:15], v[20:21], 1.0
	v_fmac_f64_e32 v[20:21], v[20:21], v[22:23]
	s_delay_alu instid0(VALU_DEP_1) | instskip(NEXT) | instid1(VALU_DEP_1)
	v_fma_f64 v[22:23], -v[14:15], v[20:21], 1.0
	v_fmac_f64_e32 v[20:21], v[20:21], v[22:23]
	v_div_scale_f64 v[22:23], vcc_lo, v[10:11], v[16:17], v[10:11]
	s_delay_alu instid0(VALU_DEP_1) | instskip(NEXT) | instid1(VALU_DEP_1)
	v_mul_f64_e32 v[26:27], v[22:23], v[20:21]
	v_fma_f64 v[14:15], -v[14:15], v[26:27], v[22:23]
	s_delay_alu instid0(VALU_DEP_1) | instskip(NEXT) | instid1(VALU_DEP_1)
	v_div_fmas_f64 v[14:15], v[14:15], v[20:21], v[26:27]
	v_div_fixup_f64 v[10:11], v[14:15], v[16:17], v[10:11]
.LBB29_113:                             ;   in Loop: Header=BB29_101 Depth=2
	s_wait_xcnt 0x0
	s_add_co_i32 s46, s4, 1
	s_delay_alu instid0(SALU_CYCLE_1)
	s_cmp_ge_i32 s46, s40
	s_cbranch_scc1 .LBB29_142
; %bb.114:                              ;   in Loop: Header=BB29_101 Depth=2
	s_ashr_i32 s47, s46, 31
	s_mov_b32 s5, 1
	s_lshl_b64 s[48:49], s[46:47], 3
	s_delay_alu instid0(SALU_CYCLE_1)
	s_add_nc_u64 s[46:47], s[8:9], s[48:49]
	s_add_nc_u64 s[48:49], s[24:25], s[48:49]
	global_load_b64 v[20:21], v24, s[46:47]
	s_cmp_eq_u32 s5, 0
	s_wait_loadcnt 0x0
	v_add_f64_e32 v[14:15], v[10:11], v[20:21]
	s_cbranch_scc1 .LBB29_116
.LBB29_115:                             ;   in Loop: Header=BB29_101 Depth=2
	s_delay_alu instid0(VALU_DEP_1)
	v_mul_f64_e32 v[12:13], v[12:13], v[14:15]
	global_store_b64 v24, v[12:13], s[46:47] offset:-8
.LBB29_116:                             ;   Parent Loop BB29_3 Depth=1
                                        ;     Parent Loop BB29_101 Depth=2
                                        ; =>    This Inner Loop Header: Depth=3
	s_wait_xcnt 0x0
	s_delay_alu instid0(VALU_DEP_1)
	v_div_scale_f64 v[12:13], null, v[14:15], v[14:15], v[10:11]
	v_div_scale_f64 v[22:23], null, v[14:15], v[14:15], v[20:21]
	global_load_b64 v[26:27], v24, s[48:49]
	v_div_scale_f64 v[36:37], vcc_lo, v[10:11], v[14:15], v[10:11]
	v_rcp_f64_e32 v[28:29], v[12:13]
	v_rcp_f64_e32 v[30:31], v[22:23]
	s_delay_alu instid0(TRANS32_DEP_2) | instskip(NEXT) | instid1(TRANS32_DEP_1)
	v_fma_f64 v[32:33], -v[12:13], v[28:29], 1.0
	v_fma_f64 v[34:35], -v[22:23], v[30:31], 1.0
	s_delay_alu instid0(VALU_DEP_2) | instskip(NEXT) | instid1(VALU_DEP_2)
	v_fmac_f64_e32 v[28:29], v[28:29], v[32:33]
	v_fmac_f64_e32 v[30:31], v[30:31], v[34:35]
	s_delay_alu instid0(VALU_DEP_2) | instskip(NEXT) | instid1(VALU_DEP_2)
	v_fma_f64 v[32:33], -v[12:13], v[28:29], 1.0
	v_fma_f64 v[34:35], -v[22:23], v[30:31], 1.0
	s_delay_alu instid0(VALU_DEP_2) | instskip(SKIP_1) | instid1(VALU_DEP_3)
	v_fmac_f64_e32 v[28:29], v[28:29], v[32:33]
	v_div_scale_f64 v[32:33], s3, v[20:21], v[14:15], v[20:21]
	v_fmac_f64_e32 v[30:31], v[30:31], v[34:35]
	s_delay_alu instid0(VALU_DEP_3) | instskip(NEXT) | instid1(VALU_DEP_2)
	v_mul_f64_e32 v[34:35], v[36:37], v[28:29]
	v_mul_f64_e32 v[38:39], v[32:33], v[30:31]
	s_delay_alu instid0(VALU_DEP_2) | instskip(NEXT) | instid1(VALU_DEP_2)
	v_fma_f64 v[12:13], -v[12:13], v[34:35], v[36:37]
	v_fma_f64 v[22:23], -v[22:23], v[38:39], v[32:33]
	s_delay_alu instid0(VALU_DEP_2) | instskip(SKIP_1) | instid1(VALU_DEP_2)
	v_div_fmas_f64 v[28:29], v[12:13], v[28:29], v[34:35]
	s_mov_b32 vcc_lo, s3
	v_div_fmas_f64 v[12:13], v[22:23], v[30:31], v[38:39]
	s_delay_alu instid0(VALU_DEP_2) | instskip(NEXT) | instid1(VALU_DEP_2)
	v_div_fixup_f64 v[22:23], v[28:29], v[14:15], v[10:11]
	v_div_fixup_f64 v[12:13], v[12:13], v[14:15], v[20:21]
	s_wait_loadcnt 0x0
	v_add_f64_e64 v[10:11], v[26:27], -v[8:9]
	s_delay_alu instid0(VALU_DEP_3) | instskip(NEXT) | instid1(VALU_DEP_3)
	v_cmp_eq_f64_e32 vcc_lo, 0, v[22:23]
	v_mul_f64_e32 v[14:15], v[18:19], v[12:13]
	s_and_b32 vcc_lo, exec_lo, vcc_lo
	s_delay_alu instid0(VALU_DEP_1) | instskip(NEXT) | instid1(VALU_DEP_1)
	v_fma_f64 v[14:15], v[22:23], v[10:11], -v[14:15]
	v_add_f64_e64 v[10:11], v[26:27], -v[14:15]
	s_delay_alu instid0(VALU_DEP_1)
	v_add_f64_e32 v[10:11], v[18:19], v[10:11]
	global_store_b64 v24, v[10:11], s[48:49] offset:-8
	s_cbranch_vccz .LBB29_121
; %bb.117:                              ;   in Loop: Header=BB29_116 Depth=3
	s_wait_xcnt 0x0
	v_mul_f64_e32 v[10:11], v[16:17], v[20:21]
	s_cbranch_execnz .LBB29_119
.LBB29_118:                             ;   in Loop: Header=BB29_116 Depth=3
	s_wait_xcnt 0x0
	v_mul_f64_e32 v[10:11], v[14:15], v[14:15]
	s_delay_alu instid0(VALU_DEP_1) | instskip(NEXT) | instid1(VALU_DEP_1)
	v_div_scale_f64 v[16:17], null, v[22:23], v[22:23], v[10:11]
	v_rcp_f64_e32 v[18:19], v[16:17]
	v_nop
	s_delay_alu instid0(TRANS32_DEP_1) | instskip(NEXT) | instid1(VALU_DEP_1)
	v_fma_f64 v[20:21], -v[16:17], v[18:19], 1.0
	v_fmac_f64_e32 v[18:19], v[18:19], v[20:21]
	s_delay_alu instid0(VALU_DEP_1) | instskip(NEXT) | instid1(VALU_DEP_1)
	v_fma_f64 v[20:21], -v[16:17], v[18:19], 1.0
	v_fmac_f64_e32 v[18:19], v[18:19], v[20:21]
	v_div_scale_f64 v[20:21], vcc_lo, v[10:11], v[22:23], v[10:11]
	s_delay_alu instid0(VALU_DEP_1) | instskip(NEXT) | instid1(VALU_DEP_1)
	v_mul_f64_e32 v[26:27], v[20:21], v[18:19]
	v_fma_f64 v[16:17], -v[16:17], v[26:27], v[20:21]
	s_delay_alu instid0(VALU_DEP_1) | instskip(NEXT) | instid1(VALU_DEP_1)
	v_div_fmas_f64 v[16:17], v[16:17], v[18:19], v[26:27]
	v_div_fixup_f64 v[10:11], v[16:17], v[22:23], v[10:11]
.LBB29_119:                             ;   in Loop: Header=BB29_116 Depth=3
	s_add_co_i32 s5, s5, 1
	s_add_nc_u64 s[46:47], s[46:47], 8
	s_add_co_i32 s3, s4, s5
	s_wait_xcnt 0x0
	s_add_nc_u64 s[48:49], s[48:49], 8
	s_cmp_ge_i32 s3, s40
	s_cbranch_scc1 .LBB29_143
; %bb.120:                              ;   in Loop: Header=BB29_116 Depth=3
	v_mov_b64_e32 v[16:17], v[22:23]
	v_mov_b64_e32 v[18:19], v[14:15]
	global_load_b64 v[20:21], v24, s[46:47]
	s_cmp_eq_u32 s5, 0
	s_wait_loadcnt 0x0
	v_add_f64_e32 v[14:15], v[10:11], v[20:21]
	s_cbranch_scc0 .LBB29_115
	s_branch .LBB29_116
.LBB29_121:                             ;   in Loop: Header=BB29_116 Depth=3
                                        ; implicit-def: $vgpr10_vgpr11
	s_branch .LBB29_118
.LBB29_122:                             ;   in Loop: Header=BB29_101 Depth=2
	s_mov_b32 s40, s3
	s_cbranch_execz .LBB29_100
	s_branch .LBB29_146
.LBB29_123:                             ;   in Loop: Header=BB29_101 Depth=2
	s_mov_b32 s50, -1
	s_mov_b32 s3, 0
                                        ; implicit-def: $sgpr5
.LBB29_124:                             ;   in Loop: Header=BB29_101 Depth=2
	s_and_b32 vcc_lo, exec_lo, s50
	s_cbranch_vccz .LBB29_145
.LBB29_125:                             ;   in Loop: Header=BB29_101 Depth=2
	v_mov_b32_e32 v12, s4
	s_clause 0x1
	global_load_b64 v[8:9], v12, s[10:11] scale_offset
	global_load_b64 v[10:11], v12, s[6:7] scale_offset
	s_wait_loadcnt 0x1
	v_cmp_gt_f64_e32 vcc_lo, 0x10000000, v[8:9]
	s_and_b32 s3, vcc_lo, exec_lo
	s_cselect_b32 s3, 0x100, 0
	s_delay_alu instid0(SALU_CYCLE_1) | instskip(SKIP_2) | instid1(VALU_DEP_1)
	v_ldexp_f64 v[8:9], v[8:9], s3
	s_cselect_b32 s3, 0xffffff80, 0
	s_wait_xcnt 0x0
	v_rsq_f64_e32 v[12:13], v[8:9]
	v_cmp_class_f64_e64 vcc_lo, v[8:9], 0x260
	s_delay_alu instid0(TRANS32_DEP_1) | instskip(SKIP_1) | instid1(VALU_DEP_1)
	v_mul_f64_e32 v[14:15], v[8:9], v[12:13]
	v_mul_f64_e32 v[12:13], 0.5, v[12:13]
	v_fma_f64 v[16:17], -v[12:13], v[14:15], 0.5
	s_delay_alu instid0(VALU_DEP_1) | instskip(SKIP_1) | instid1(VALU_DEP_2)
	v_fmac_f64_e32 v[14:15], v[14:15], v[16:17]
	v_fmac_f64_e32 v[12:13], v[12:13], v[16:17]
	v_fma_f64 v[16:17], -v[14:15], v[14:15], v[8:9]
	s_delay_alu instid0(VALU_DEP_1) | instskip(NEXT) | instid1(VALU_DEP_1)
	v_fmac_f64_e32 v[14:15], v[16:17], v[12:13]
	v_fma_f64 v[16:17], -v[14:15], v[14:15], v[8:9]
	s_delay_alu instid0(VALU_DEP_1) | instskip(NEXT) | instid1(VALU_DEP_1)
	v_fmac_f64_e32 v[14:15], v[16:17], v[12:13]
	v_ldexp_f64 v[12:13], v[14:15], s3
	s_wait_loadcnt 0x0
	s_delay_alu instid0(VALU_DEP_1) | instskip(NEXT) | instid1(VALU_DEP_2)
	v_dual_add_f64 v[14:15], v[6:7], -v[10:11] :: v_dual_cndmask_b32 v8, v12, v8, vcc_lo
	v_cndmask_b32_e32 v9, v13, v9, vcc_lo
	s_delay_alu instid0(VALU_DEP_1) | instskip(NEXT) | instid1(VALU_DEP_1)
	v_add_f64_e32 v[16:17], v[8:9], v[8:9]
	v_cmp_ngt_f64_e64 s3, |v[14:15]|, |v[16:17]|
	s_and_b32 vcc_lo, exec_lo, s3
	s_cbranch_vccz .LBB29_128
; %bb.126:                              ;   in Loop: Header=BB29_101 Depth=2
	v_cmp_nlt_f64_e64 s3, |v[14:15]|, |v[16:17]|
	s_and_b32 vcc_lo, exec_lo, s3
	s_cbranch_vccz .LBB29_129
; %bb.127:                              ;   in Loop: Header=BB29_101 Depth=2
	v_mul_f64_e64 v[12:13], |v[16:17]|, s[20:21]
	s_cbranch_execz .LBB29_130
	s_branch .LBB29_131
.LBB29_128:                             ;   in Loop: Header=BB29_101 Depth=2
                                        ; implicit-def: $vgpr12_vgpr13
	s_branch .LBB29_132
.LBB29_129:                             ;   in Loop: Header=BB29_101 Depth=2
                                        ; implicit-def: $vgpr12_vgpr13
.LBB29_130:                             ;   in Loop: Header=BB29_101 Depth=2
	v_and_b32_e32 v13, 0x7fffffff, v15
	v_dual_mov_b32 v12, v14 :: v_dual_mov_b32 v18, v16
	v_and_b32_e32 v19, 0x7fffffff, v17
	s_delay_alu instid0(VALU_DEP_1) | instskip(SKIP_1) | instid1(VALU_DEP_2)
	v_div_scale_f64 v[20:21], null, v[18:19], v[18:19], v[12:13]
	v_div_scale_f64 v[12:13], vcc_lo, v[12:13], v[18:19], v[12:13]
	v_rcp_f64_e32 v[22:23], v[20:21]
	v_nop
	s_delay_alu instid0(TRANS32_DEP_1) | instskip(NEXT) | instid1(VALU_DEP_1)
	v_fma_f64 v[26:27], -v[20:21], v[22:23], 1.0
	v_fmac_f64_e32 v[22:23], v[22:23], v[26:27]
	s_delay_alu instid0(VALU_DEP_1) | instskip(NEXT) | instid1(VALU_DEP_1)
	v_fma_f64 v[26:27], -v[20:21], v[22:23], 1.0
	v_fmac_f64_e32 v[22:23], v[22:23], v[26:27]
	s_delay_alu instid0(VALU_DEP_1) | instskip(NEXT) | instid1(VALU_DEP_1)
	v_mul_f64_e32 v[18:19], v[12:13], v[22:23]
	v_fma_f64 v[12:13], -v[20:21], v[18:19], v[12:13]
	s_delay_alu instid0(VALU_DEP_1) | instskip(NEXT) | instid1(VALU_DEP_1)
	v_div_fmas_f64 v[12:13], v[12:13], v[22:23], v[18:19]
	v_div_fixup_f64 v[12:13], v[12:13], |v[16:17]|, |v[14:15]|
	s_delay_alu instid0(VALU_DEP_1) | instskip(NEXT) | instid1(VALU_DEP_1)
	v_fma_f64 v[12:13], v[12:13], v[12:13], 1.0
	v_cmp_gt_f64_e32 vcc_lo, 0x10000000, v[12:13]
	s_and_b32 s3, vcc_lo, exec_lo
	s_cselect_b32 s3, 0x100, 0
	s_delay_alu instid0(SALU_CYCLE_1) | instskip(SKIP_1) | instid1(VALU_DEP_1)
	v_ldexp_f64 v[12:13], v[12:13], s3
	s_cselect_b32 s3, 0xffffff80, 0
	v_rsq_f64_e32 v[18:19], v[12:13]
	v_cmp_class_f64_e64 vcc_lo, v[12:13], 0x260
	s_delay_alu instid0(TRANS32_DEP_1) | instskip(SKIP_1) | instid1(VALU_DEP_1)
	v_mul_f64_e32 v[20:21], v[12:13], v[18:19]
	v_mul_f64_e32 v[18:19], 0.5, v[18:19]
	v_fma_f64 v[22:23], -v[18:19], v[20:21], 0.5
	s_delay_alu instid0(VALU_DEP_1) | instskip(SKIP_1) | instid1(VALU_DEP_2)
	v_fmac_f64_e32 v[20:21], v[20:21], v[22:23]
	v_fmac_f64_e32 v[18:19], v[18:19], v[22:23]
	v_fma_f64 v[22:23], -v[20:21], v[20:21], v[12:13]
	s_delay_alu instid0(VALU_DEP_1) | instskip(NEXT) | instid1(VALU_DEP_1)
	v_fmac_f64_e32 v[20:21], v[22:23], v[18:19]
	v_fma_f64 v[22:23], -v[20:21], v[20:21], v[12:13]
	s_delay_alu instid0(VALU_DEP_1) | instskip(NEXT) | instid1(VALU_DEP_1)
	v_fmac_f64_e32 v[20:21], v[22:23], v[18:19]
	v_ldexp_f64 v[18:19], v[20:21], s3
	s_delay_alu instid0(VALU_DEP_1) | instskip(NEXT) | instid1(VALU_DEP_1)
	v_dual_cndmask_b32 v13, v19, v13 :: v_dual_cndmask_b32 v12, v18, v12
	v_mul_f64_e64 v[12:13], |v[16:17]|, v[12:13]
.LBB29_131:                             ;   in Loop: Header=BB29_101 Depth=2
	s_cbranch_execnz .LBB29_133
.LBB29_132:                             ;   in Loop: Header=BB29_101 Depth=2
	v_and_b32_e32 v13, 0x7fffffff, v17
	v_dual_mov_b32 v12, v16 :: v_dual_mov_b32 v18, v14
	v_and_b32_e32 v19, 0x7fffffff, v15
	s_delay_alu instid0(VALU_DEP_1) | instskip(SKIP_1) | instid1(VALU_DEP_2)
	v_div_scale_f64 v[20:21], null, v[18:19], v[18:19], v[12:13]
	v_div_scale_f64 v[12:13], vcc_lo, v[12:13], v[18:19], v[12:13]
	v_rcp_f64_e32 v[22:23], v[20:21]
	v_nop
	s_delay_alu instid0(TRANS32_DEP_1) | instskip(NEXT) | instid1(VALU_DEP_1)
	v_fma_f64 v[26:27], -v[20:21], v[22:23], 1.0
	v_fmac_f64_e32 v[22:23], v[22:23], v[26:27]
	s_delay_alu instid0(VALU_DEP_1) | instskip(NEXT) | instid1(VALU_DEP_1)
	v_fma_f64 v[26:27], -v[20:21], v[22:23], 1.0
	v_fmac_f64_e32 v[22:23], v[22:23], v[26:27]
	s_delay_alu instid0(VALU_DEP_1) | instskip(NEXT) | instid1(VALU_DEP_1)
	v_mul_f64_e32 v[18:19], v[12:13], v[22:23]
	v_fma_f64 v[12:13], -v[20:21], v[18:19], v[12:13]
	s_delay_alu instid0(VALU_DEP_1) | instskip(NEXT) | instid1(VALU_DEP_1)
	v_div_fmas_f64 v[12:13], v[12:13], v[22:23], v[18:19]
	v_div_fixup_f64 v[12:13], v[12:13], |v[14:15]|, |v[16:17]|
	s_delay_alu instid0(VALU_DEP_1) | instskip(NEXT) | instid1(VALU_DEP_1)
	v_fma_f64 v[12:13], v[12:13], v[12:13], 1.0
	v_cmp_gt_f64_e32 vcc_lo, 0x10000000, v[12:13]
	s_and_b32 s3, vcc_lo, exec_lo
	s_cselect_b32 s3, 0x100, 0
	s_delay_alu instid0(SALU_CYCLE_1) | instskip(SKIP_1) | instid1(VALU_DEP_1)
	v_ldexp_f64 v[12:13], v[12:13], s3
	s_cselect_b32 s3, 0xffffff80, 0
	v_rsq_f64_e32 v[16:17], v[12:13]
	v_cmp_class_f64_e64 vcc_lo, v[12:13], 0x260
	s_delay_alu instid0(TRANS32_DEP_1) | instskip(SKIP_1) | instid1(VALU_DEP_1)
	v_mul_f64_e32 v[18:19], v[12:13], v[16:17]
	v_mul_f64_e32 v[16:17], 0.5, v[16:17]
	v_fma_f64 v[20:21], -v[16:17], v[18:19], 0.5
	s_delay_alu instid0(VALU_DEP_1) | instskip(SKIP_1) | instid1(VALU_DEP_2)
	v_fmac_f64_e32 v[18:19], v[18:19], v[20:21]
	v_fmac_f64_e32 v[16:17], v[16:17], v[20:21]
	v_fma_f64 v[20:21], -v[18:19], v[18:19], v[12:13]
	s_delay_alu instid0(VALU_DEP_1) | instskip(NEXT) | instid1(VALU_DEP_1)
	v_fmac_f64_e32 v[18:19], v[20:21], v[16:17]
	v_fma_f64 v[20:21], -v[18:19], v[18:19], v[12:13]
	s_delay_alu instid0(VALU_DEP_1) | instskip(NEXT) | instid1(VALU_DEP_1)
	v_fmac_f64_e32 v[18:19], v[20:21], v[16:17]
	v_ldexp_f64 v[16:17], v[18:19], s3
	s_delay_alu instid0(VALU_DEP_1) | instskip(NEXT) | instid1(VALU_DEP_1)
	v_dual_cndmask_b32 v13, v17, v13 :: v_dual_cndmask_b32 v12, v16, v12
	v_mul_f64_e64 v[12:13], |v[14:15]|, v[12:13]
.LBB29_133:                             ;   in Loop: Header=BB29_101 Depth=2
	v_add_f64_e32 v[16:17], v[6:7], v[10:11]
	v_cmp_gt_f64_e64 vcc_lo, |v[6:7]|, |v[10:11]|
	s_delay_alu instid0(VALU_DEP_2)
	v_cmp_ngt_f64_e64 s3, 0, v[16:17]
	v_dual_cndmask_b32 v15, v7, v11 :: v_dual_cndmask_b32 v14, v6, v10
	v_dual_cndmask_b32 v7, v11, v7 :: v_dual_cndmask_b32 v6, v10, v6
	s_and_b32 vcc_lo, exec_lo, s3
	s_cbranch_vccz .LBB29_136
; %bb.134:                              ;   in Loop: Header=BB29_101 Depth=2
	v_cmp_nlt_f64_e32 vcc_lo, 0, v[16:17]
	s_cbranch_vccz .LBB29_137
; %bb.135:                              ;   in Loop: Header=BB29_101 Depth=2
	v_mul_f64_e32 v[10:11], 0.5, v[12:13]
	v_mul_f64_e32 v[18:19], -0.5, v[12:13]
	s_cbranch_execz .LBB29_138
	s_branch .LBB29_139
.LBB29_136:                             ;   in Loop: Header=BB29_101 Depth=2
                                        ; implicit-def: $vgpr18_vgpr19
                                        ; implicit-def: $vgpr10_vgpr11
	s_branch .LBB29_140
.LBB29_137:                             ;   in Loop: Header=BB29_101 Depth=2
                                        ; implicit-def: $vgpr18_vgpr19
                                        ; implicit-def: $vgpr10_vgpr11
.LBB29_138:                             ;   in Loop: Header=BB29_101 Depth=2
	v_add_f64_e32 v[10:11], v[16:17], v[12:13]
	s_delay_alu instid0(VALU_DEP_1) | instskip(NEXT) | instid1(VALU_DEP_1)
	v_mul_f64_e32 v[10:11], 0.5, v[10:11]
	v_div_scale_f64 v[18:19], null, v[10:11], v[10:11], v[6:7]
	v_div_scale_f64 v[20:21], null, v[10:11], v[10:11], v[8:9]
	v_div_scale_f64 v[32:33], vcc_lo, v[6:7], v[10:11], v[6:7]
	s_delay_alu instid0(VALU_DEP_3) | instskip(NEXT) | instid1(VALU_DEP_2)
	v_rcp_f64_e32 v[22:23], v[18:19]
	v_rcp_f64_e32 v[26:27], v[20:21]
	s_delay_alu instid0(TRANS32_DEP_2) | instskip(NEXT) | instid1(TRANS32_DEP_1)
	v_fma_f64 v[28:29], -v[18:19], v[22:23], 1.0
	v_fma_f64 v[30:31], -v[20:21], v[26:27], 1.0
	s_delay_alu instid0(VALU_DEP_2) | instskip(NEXT) | instid1(VALU_DEP_2)
	v_fmac_f64_e32 v[22:23], v[22:23], v[28:29]
	v_fmac_f64_e32 v[26:27], v[26:27], v[30:31]
	s_delay_alu instid0(VALU_DEP_2) | instskip(NEXT) | instid1(VALU_DEP_2)
	v_fma_f64 v[28:29], -v[18:19], v[22:23], 1.0
	v_fma_f64 v[30:31], -v[20:21], v[26:27], 1.0
	s_delay_alu instid0(VALU_DEP_2) | instskip(SKIP_1) | instid1(VALU_DEP_3)
	v_fmac_f64_e32 v[22:23], v[22:23], v[28:29]
	v_div_scale_f64 v[28:29], s3, v[8:9], v[10:11], v[8:9]
	v_fmac_f64_e32 v[26:27], v[26:27], v[30:31]
	s_delay_alu instid0(VALU_DEP_3) | instskip(NEXT) | instid1(VALU_DEP_2)
	v_mul_f64_e32 v[30:31], v[32:33], v[22:23]
	v_mul_f64_e32 v[34:35], v[28:29], v[26:27]
	s_delay_alu instid0(VALU_DEP_2) | instskip(NEXT) | instid1(VALU_DEP_2)
	v_fma_f64 v[18:19], -v[18:19], v[30:31], v[32:33]
	v_fma_f64 v[20:21], -v[20:21], v[34:35], v[28:29]
	s_delay_alu instid0(VALU_DEP_2) | instskip(SKIP_1) | instid1(VALU_DEP_2)
	v_div_fmas_f64 v[18:19], v[18:19], v[22:23], v[30:31]
	s_mov_b32 vcc_lo, s3
	v_div_fmas_f64 v[20:21], v[20:21], v[26:27], v[34:35]
	s_delay_alu instid0(VALU_DEP_2) | instskip(NEXT) | instid1(VALU_DEP_2)
	v_div_fixup_f64 v[18:19], v[18:19], v[10:11], v[6:7]
	v_div_fixup_f64 v[20:21], v[20:21], v[10:11], v[8:9]
	s_delay_alu instid0(VALU_DEP_1) | instskip(NEXT) | instid1(VALU_DEP_1)
	v_mul_f64_e32 v[20:21], v[8:9], v[20:21]
	v_fma_f64 v[18:19], v[14:15], v[18:19], -v[20:21]
.LBB29_139:                             ;   in Loop: Header=BB29_101 Depth=2
	s_cbranch_execnz .LBB29_141
.LBB29_140:                             ;   in Loop: Header=BB29_101 Depth=2
	v_add_f64_e64 v[10:11], v[16:17], -v[12:13]
	s_delay_alu instid0(VALU_DEP_1) | instskip(NEXT) | instid1(VALU_DEP_1)
	v_mul_f64_e32 v[10:11], 0.5, v[10:11]
	v_div_scale_f64 v[12:13], null, v[10:11], v[10:11], v[6:7]
	v_div_scale_f64 v[16:17], null, v[10:11], v[10:11], v[8:9]
	v_div_scale_f64 v[28:29], vcc_lo, v[6:7], v[10:11], v[6:7]
	s_delay_alu instid0(VALU_DEP_3) | instskip(NEXT) | instid1(VALU_DEP_2)
	v_rcp_f64_e32 v[18:19], v[12:13]
	v_rcp_f64_e32 v[20:21], v[16:17]
	s_delay_alu instid0(TRANS32_DEP_2) | instskip(NEXT) | instid1(TRANS32_DEP_1)
	v_fma_f64 v[22:23], -v[12:13], v[18:19], 1.0
	v_fma_f64 v[26:27], -v[16:17], v[20:21], 1.0
	s_delay_alu instid0(VALU_DEP_2) | instskip(NEXT) | instid1(VALU_DEP_2)
	v_fmac_f64_e32 v[18:19], v[18:19], v[22:23]
	v_fmac_f64_e32 v[20:21], v[20:21], v[26:27]
	s_delay_alu instid0(VALU_DEP_2) | instskip(NEXT) | instid1(VALU_DEP_2)
	v_fma_f64 v[22:23], -v[12:13], v[18:19], 1.0
	v_fma_f64 v[26:27], -v[16:17], v[20:21], 1.0
	s_delay_alu instid0(VALU_DEP_2) | instskip(SKIP_1) | instid1(VALU_DEP_3)
	v_fmac_f64_e32 v[18:19], v[18:19], v[22:23]
	v_div_scale_f64 v[22:23], s3, v[8:9], v[10:11], v[8:9]
	v_fmac_f64_e32 v[20:21], v[20:21], v[26:27]
	s_delay_alu instid0(VALU_DEP_3) | instskip(NEXT) | instid1(VALU_DEP_2)
	v_mul_f64_e32 v[26:27], v[28:29], v[18:19]
	v_mul_f64_e32 v[30:31], v[22:23], v[20:21]
	s_delay_alu instid0(VALU_DEP_2) | instskip(NEXT) | instid1(VALU_DEP_2)
	v_fma_f64 v[12:13], -v[12:13], v[26:27], v[28:29]
	v_fma_f64 v[16:17], -v[16:17], v[30:31], v[22:23]
	s_delay_alu instid0(VALU_DEP_2) | instskip(SKIP_1) | instid1(VALU_DEP_2)
	v_div_fmas_f64 v[12:13], v[12:13], v[18:19], v[26:27]
	s_mov_b32 vcc_lo, s3
	v_div_fmas_f64 v[16:17], v[16:17], v[20:21], v[30:31]
	s_delay_alu instid0(VALU_DEP_2) | instskip(NEXT) | instid1(VALU_DEP_2)
	v_div_fixup_f64 v[6:7], v[12:13], v[10:11], v[6:7]
	v_div_fixup_f64 v[16:17], v[16:17], v[10:11], v[8:9]
	s_delay_alu instid0(VALU_DEP_1) | instskip(NEXT) | instid1(VALU_DEP_1)
	v_mul_f64_e32 v[8:9], v[8:9], v[16:17]
	v_fma_f64 v[18:19], v[14:15], v[6:7], -v[8:9]
.LBB29_141:                             ;   in Loop: Header=BB29_101 Depth=2
	s_ashr_i32 s5, s4, 31
	global_store_b64 v24, v[10:11], s[42:43]
	s_lshl_b64 s[4:5], s[4:5], 3
	s_add_co_i32 s40, s40, -2
	s_wait_xcnt 0x0
	s_add_nc_u64 s[42:43], s[6:7], s[4:5]
	s_add_nc_u64 s[4:5], s[10:11], s[4:5]
	global_store_b64 v24, v[18:19], s[42:43]
	global_store_b64 v24, v[2:3], s[4:5]
	s_cbranch_execz .LBB29_100
	s_branch .LBB29_146
.LBB29_142:                             ;   in Loop: Header=BB29_101 Depth=2
	v_mov_b64_e32 v[14:15], v[18:19]
.LBB29_143:                             ;   in Loop: Header=BB29_101 Depth=2
	s_delay_alu instid0(VALU_DEP_1)
	v_mov_b64_e32 v[16:17], v[10:11]
.LBB29_144:                             ;   in Loop: Header=BB29_101 Depth=2
	s_delay_alu instid0(VALU_DEP_1) | instskip(NEXT) | instid1(VALU_DEP_3)
	v_mul_f64_e32 v[10:11], v[16:17], v[12:13]
	v_add_f64_e32 v[8:9], v[8:9], v[14:15]
	s_add_co_i32 s5, s58, 1
	s_mov_b32 s3, -1
	s_clause 0x1
	global_store_b64 v24, v[10:11], s[44:45] offset:-8
	global_store_b64 v24, v[8:9], s[42:43]
	s_and_b32 vcc_lo, exec_lo, s50
	s_cbranch_vccnz .LBB29_125
.LBB29_145:                             ;   in Loop: Header=BB29_101 Depth=2
	s_mov_b32 s58, s5
	s_and_b32 vcc_lo, exec_lo, s3
	s_cbranch_vccz .LBB29_100
.LBB29_146:                             ;   in Loop: Header=BB29_101 Depth=2
	s_cmp_lt_i32 s40, s31
	s_cselect_b32 s3, -1, 0
	s_cmp_ge_i32 s58, s56
	s_wait_xcnt 0x0
	s_cselect_b32 s4, -1, 0
	s_delay_alu instid0(SALU_CYCLE_1)
	s_or_b32 s41, s3, s4
	s_branch .LBB29_100
.LBB29_147:
	s_cmp_lt_i32 s33, 2
	s_cbranch_scc1 .LBB29_158
; %bb.148:
	s_load_b64 s[0:1], s[0:1], 0x28
	v_mov_b32_e32 v0, 0
	s_lshl_b64 s[2:3], s[16:17], 2
	s_wait_kmcnt 0x0
	s_add_nc_u64 s[0:1], s[0:1], s[2:3]
	s_mov_b32 s2, 1
	s_branch .LBB29_150
.LBB29_149:                             ;   in Loop: Header=BB29_150 Depth=1
	s_add_co_i32 s2, s2, 1
	s_wait_xcnt 0x0
	s_add_nc_u64 s[10:11], s[10:11], 8
	s_cmp_lg_u32 s33, s2
	s_cbranch_scc0 .LBB29_152
.LBB29_150:                             ; =>This Inner Loop Header: Depth=1
	global_load_b64 v[2:3], v0, s[10:11]
	s_wait_loadcnt 0x0
	v_cmp_eq_f64_e32 vcc_lo, 0, v[2:3]
	s_cbranch_vccnz .LBB29_149
; %bb.151:                              ;   in Loop: Header=BB29_150 Depth=1
	global_load_b32 v1, v0, s[0:1]
	s_wait_loadcnt 0x0
	v_add_nc_u32_e32 v1, 1, v1
	global_store_b32 v0, v1, s[0:1]
	s_branch .LBB29_149
.LBB29_152:
	v_mov_b32_e32 v4, 0
	s_add_nc_u64 s[0:1], s[6:7], 8
	s_mov_b32 s2, 1
	s_branch .LBB29_154
.LBB29_153:                             ;   in Loop: Header=BB29_154 Depth=1
	s_add_co_i32 s2, s2, 1
	s_add_nc_u64 s[0:1], s[0:1], 8
	s_cmp_lg_u32 s2, s33
	s_cbranch_scc0 .LBB29_158
.LBB29_154:                             ; =>This Loop Header: Depth=1
                                        ;     Child Loop BB29_155 Depth 2
	s_wait_xcnt 0x1
	v_mov_b32_e32 v0, s2
	s_ashr_i32 s3, s2, 31
	s_mov_b64 s[8:9], s[0:1]
	s_wait_xcnt 0x0
	s_lshl_b64 s[4:5], s[2:3], 3
	s_add_co_i32 s3, s2, -1
	global_load_b64 v[0:1], v0, s[6:7] offset:-8 scale_offset
	s_add_nc_u64 s[4:5], s[6:7], s[4:5]
	s_mov_b32 s11, s2
	s_mov_b32 s10, s3
	s_wait_loadcnt 0x0
	v_mov_b64_e32 v[2:3], v[0:1]
.LBB29_155:                             ;   Parent Loop BB29_154 Depth=1
                                        ; =>  This Inner Loop Header: Depth=2
	global_load_b64 v[6:7], v4, s[8:9]
	s_wait_xcnt 0x0
	s_add_nc_u64 s[8:9], s[8:9], 8
	s_wait_loadcnt 0x0
	v_cmp_lt_f64_e32 vcc_lo, v[6:7], v[2:3]
	v_dual_cndmask_b32 v3, v3, v7 :: v_dual_cndmask_b32 v2, v2, v6
	s_and_b32 s12, vcc_lo, exec_lo
	s_cselect_b32 s10, s11, s10
	s_add_co_i32 s11, s11, 1
	s_delay_alu instid0(SALU_CYCLE_1)
	s_cmp_eq_u32 s33, s11
	s_cbranch_scc0 .LBB29_155
; %bb.156:                              ;   in Loop: Header=BB29_154 Depth=1
	s_cmp_lg_u32 s10, s3
	s_cbranch_scc0 .LBB29_153
; %bb.157:                              ;   in Loop: Header=BB29_154 Depth=1
	v_mov_b32_e32 v5, s10
	s_clause 0x1
	global_store_b64 v5, v[0:1], s[6:7] scale_offset
	global_store_b64 v4, v[2:3], s[4:5] offset:-8
	s_branch .LBB29_153
.LBB29_158:
	s_endpgm
	.section	.rodata,"a",@progbits
	.p2align	6, 0x0
	.amdhsa_kernel _ZN9rocsolver6v33100L12sterf_kernelIdEEviPT_lS3_lPiS4_iS2_S2_S2_
		.amdhsa_group_segment_fixed_size 0
		.amdhsa_private_segment_fixed_size 0
		.amdhsa_kernarg_size 88
		.amdhsa_user_sgpr_count 2
		.amdhsa_user_sgpr_dispatch_ptr 0
		.amdhsa_user_sgpr_queue_ptr 0
		.amdhsa_user_sgpr_kernarg_segment_ptr 1
		.amdhsa_user_sgpr_dispatch_id 0
		.amdhsa_user_sgpr_kernarg_preload_length 0
		.amdhsa_user_sgpr_kernarg_preload_offset 0
		.amdhsa_user_sgpr_private_segment_size 0
		.amdhsa_wavefront_size32 1
		.amdhsa_uses_dynamic_stack 0
		.amdhsa_enable_private_segment 0
		.amdhsa_system_sgpr_workgroup_id_x 1
		.amdhsa_system_sgpr_workgroup_id_y 0
		.amdhsa_system_sgpr_workgroup_id_z 0
		.amdhsa_system_sgpr_workgroup_info 0
		.amdhsa_system_vgpr_workitem_id 0
		.amdhsa_next_free_vgpr 40
		.amdhsa_next_free_sgpr 60
		.amdhsa_named_barrier_count 0
		.amdhsa_reserve_vcc 1
		.amdhsa_float_round_mode_32 0
		.amdhsa_float_round_mode_16_64 0
		.amdhsa_float_denorm_mode_32 3
		.amdhsa_float_denorm_mode_16_64 3
		.amdhsa_fp16_overflow 0
		.amdhsa_memory_ordered 1
		.amdhsa_forward_progress 1
		.amdhsa_inst_pref_size 75
		.amdhsa_round_robin_scheduling 0
		.amdhsa_exception_fp_ieee_invalid_op 0
		.amdhsa_exception_fp_denorm_src 0
		.amdhsa_exception_fp_ieee_div_zero 0
		.amdhsa_exception_fp_ieee_overflow 0
		.amdhsa_exception_fp_ieee_underflow 0
		.amdhsa_exception_fp_ieee_inexact 0
		.amdhsa_exception_int_div_zero 0
	.end_amdhsa_kernel
	.section	.text._ZN9rocsolver6v33100L12sterf_kernelIdEEviPT_lS3_lPiS4_iS2_S2_S2_,"axG",@progbits,_ZN9rocsolver6v33100L12sterf_kernelIdEEviPT_lS3_lPiS4_iS2_S2_S2_,comdat
.Lfunc_end29:
	.size	_ZN9rocsolver6v33100L12sterf_kernelIdEEviPT_lS3_lPiS4_iS2_S2_S2_, .Lfunc_end29-_ZN9rocsolver6v33100L12sterf_kernelIdEEviPT_lS3_lPiS4_iS2_S2_S2_
                                        ; -- End function
	.set _ZN9rocsolver6v33100L12sterf_kernelIdEEviPT_lS3_lPiS4_iS2_S2_S2_.num_vgpr, 40
	.set _ZN9rocsolver6v33100L12sterf_kernelIdEEviPT_lS3_lPiS4_iS2_S2_S2_.num_agpr, 0
	.set _ZN9rocsolver6v33100L12sterf_kernelIdEEviPT_lS3_lPiS4_iS2_S2_S2_.numbered_sgpr, 60
	.set _ZN9rocsolver6v33100L12sterf_kernelIdEEviPT_lS3_lPiS4_iS2_S2_S2_.num_named_barrier, 0
	.set _ZN9rocsolver6v33100L12sterf_kernelIdEEviPT_lS3_lPiS4_iS2_S2_S2_.private_seg_size, 0
	.set _ZN9rocsolver6v33100L12sterf_kernelIdEEviPT_lS3_lPiS4_iS2_S2_S2_.uses_vcc, 1
	.set _ZN9rocsolver6v33100L12sterf_kernelIdEEviPT_lS3_lPiS4_iS2_S2_S2_.uses_flat_scratch, 0
	.set _ZN9rocsolver6v33100L12sterf_kernelIdEEviPT_lS3_lPiS4_iS2_S2_S2_.has_dyn_sized_stack, 0
	.set _ZN9rocsolver6v33100L12sterf_kernelIdEEviPT_lS3_lPiS4_iS2_S2_S2_.has_recursion, 0
	.set _ZN9rocsolver6v33100L12sterf_kernelIdEEviPT_lS3_lPiS4_iS2_S2_S2_.has_indirect_call, 0
	.section	.AMDGPU.csdata,"",@progbits
; Kernel info:
; codeLenInByte = 9484
; TotalNumSgprs: 62
; NumVgprs: 40
; ScratchSize: 0
; MemoryBound: 0
; FloatMode: 240
; IeeeMode: 1
; LDSByteSize: 0 bytes/workgroup (compile time only)
; SGPRBlocks: 0
; VGPRBlocks: 2
; NumSGPRsForWavesPerEU: 62
; NumVGPRsForWavesPerEU: 40
; NamedBarCnt: 0
; Occupancy: 16
; WaveLimiterHint : 0
; COMPUTE_PGM_RSRC2:SCRATCH_EN: 0
; COMPUTE_PGM_RSRC2:USER_SGPR: 2
; COMPUTE_PGM_RSRC2:TRAP_HANDLER: 0
; COMPUTE_PGM_RSRC2:TGID_X_EN: 1
; COMPUTE_PGM_RSRC2:TGID_Y_EN: 0
; COMPUTE_PGM_RSRC2:TGID_Z_EN: 0
; COMPUTE_PGM_RSRC2:TIDIG_COMP_CNT: 0
	.section	.text._ZN9rocsolver6v33100L11lasr_kernelIddPdiEEv13rocblas_side_14rocblas_pivot_15rocblas_direct_T2_S6_PT0_lS8_lT1_lS6_lS6_,"axG",@progbits,_ZN9rocsolver6v33100L11lasr_kernelIddPdiEEv13rocblas_side_14rocblas_pivot_15rocblas_direct_T2_S6_PT0_lS8_lT1_lS6_lS6_,comdat
	.globl	_ZN9rocsolver6v33100L11lasr_kernelIddPdiEEv13rocblas_side_14rocblas_pivot_15rocblas_direct_T2_S6_PT0_lS8_lT1_lS6_lS6_ ; -- Begin function _ZN9rocsolver6v33100L11lasr_kernelIddPdiEEv13rocblas_side_14rocblas_pivot_15rocblas_direct_T2_S6_PT0_lS8_lT1_lS6_lS6_
	.p2align	8
	.type	_ZN9rocsolver6v33100L11lasr_kernelIddPdiEEv13rocblas_side_14rocblas_pivot_15rocblas_direct_T2_S6_PT0_lS8_lT1_lS6_lS6_,@function
_ZN9rocsolver6v33100L11lasr_kernelIddPdiEEv13rocblas_side_14rocblas_pivot_15rocblas_direct_T2_S6_PT0_lS8_lT1_lS6_lS6_: ; @_ZN9rocsolver6v33100L11lasr_kernelIddPdiEEv13rocblas_side_14rocblas_pivot_15rocblas_direct_T2_S6_PT0_lS8_lT1_lS6_lS6_
; %bb.0:
	s_load_b32 s33, s[0:1], 0x58
	s_bfe_u32 s2, ttmp6, 0x40014
	s_lshr_b32 s3, ttmp7, 16
	s_add_co_i32 s2, s2, 1
	s_bfe_u32 s5, ttmp6, 0x40008
	s_mul_i32 s2, s3, s2
	s_getreg_b32 s4, hwreg(HW_REG_IB_STS2, 6, 4)
	s_add_co_i32 s5, s5, s2
	s_cmp_eq_u32 s4, 0
	s_cselect_b32 s2, s3, s5
	s_mov_b32 s3, 0
	s_wait_kmcnt 0x0
	s_cmp_ge_u32 s2, s33
	s_cbranch_scc1 .LBB30_108
; %bb.1:
	s_clause 0x3
	s_load_b32 s20, s[0:1], 0x48
	s_load_b64 s[22:23], s[0:1], 0x68
	s_load_b128 s[16:19], s[0:1], 0x38
	s_load_b128 s[12:15], s[0:1], 0x0
	s_bfe_u32 s5, ttmp6, 0x4000c
	s_and_b32 s6, ttmp6, 15
	s_add_co_i32 s5, s5, 1
	s_load_b32 s24, s[0:1], 0x60
	s_mul_i32 s5, ttmp9, s5
	s_mov_b32 s37, s3
	s_add_co_i32 s6, s6, s5
	s_mov_b32 s49, s3
	s_wait_kmcnt 0x0
	s_ashr_i32 s21, s20, 31
	s_and_b32 s25, s23, 0xffff
	s_cmp_eq_u32 s4, 0
	s_load_b32 s23, s[0:1], 0x10
	s_cselect_b32 s26, ttmp9, s6
	s_lshl_b64 s[46:47], s[18:19], 3
	v_mad_u32 v0, s26, s25, v0
	s_cmp_eq_u32 s12, 0x8d
	s_load_b64 s[18:19], s[0:1], 0x50
	s_cselect_b32 s27, -1, 0
	s_cmp_eq_u32 s12, 0x8e
	s_load_b256 s[4:11], s[0:1], 0x18
	s_cselect_b32 s28, -1, 0
	s_cmp_eq_u32 s13, 0x119
	s_mul_i32 s12, s24, s25
	s_cselect_b32 s29, -1, 0
	s_cmp_eq_u32 s13, 0x11b
	v_ashrrev_i32_e32 v1, 31, v0
	s_wait_xcnt 0x0
	s_cselect_b32 s0, -1, 0
	s_cmp_eq_u32 s13, 0x11a
	s_add_nc_u64 s[24:25], s[16:17], s[46:47]
	s_cselect_b32 s1, -1, 0
	v_mul_u64_e32 v[8:9], s[20:21], v[0:1]
	s_cmp_eq_u32 s14, 0xab
	v_lshlrev_b64_e32 v[10:11], 3, v[0:1]
	s_cselect_b32 s13, -1, 0
	s_cmp_eq_u32 s14, 0xac
	v_mov_b32_e32 v1, 0
	s_cselect_b32 s30, -1, 0
	s_and_b32 s26, s27, s1
	s_and_b32 s14, s27, s29
	;; [unrolled: 1-line block ×6, first 2 shown]
	s_xor_b32 s78, s26, -1
	s_and_b32 s26, s28, s29
	s_and_b32 s1, s28, s1
	;; [unrolled: 1-line block ×3, first 2 shown]
	v_cmp_gt_i32_e64 s0, s15, v0
	s_and_b32 s34, s14, s30
	s_xor_b32 s14, s31, -1
	s_and_b32 s31, s27, s13
	s_and_b32 s27, s27, s30
	;; [unrolled: 1-line block ×3, first 2 shown]
	s_xor_b32 s80, s27, -1
	s_and_b32 s26, s26, s30
	s_and_b32 s27, s1, s13
	;; [unrolled: 1-line block ×3, first 2 shown]
	s_xor_b32 s82, s26, -1
	s_and_b32 s13, s28, s13
	s_xor_b32 s84, s1, -1
	s_wait_kmcnt 0x0
	s_add_co_i32 s26, s23, -1
	s_and_b32 s1, s30, s0
	s_xor_b32 s76, s34, -1
	s_xor_b32 s77, s35, -1
	;; [unrolled: 1-line block ×6, first 2 shown]
	s_ashr_i32 s27, s26, 31
	s_and_b32 s86, s28, s1
	s_add_co_i32 s36, s23, -2
	s_cmp_gt_i32 s23, 1
	s_mul_u64 s[28:29], s[20:21], s[26:27]
	s_mov_b32 s27, s3
	s_cselect_b32 s87, -1, 0
	s_ashr_i32 s31, s15, 31
	s_add_co_i32 s48, s15, -2
	s_cmp_gt_i32 s15, 1
	s_mul_u64 s[50:51], s[20:21], s[26:27]
	s_cselect_b32 s88, -1, 0
	s_lshl_b64 s[50:51], s[50:51], 3
	s_lshl_b64 s[42:43], s[20:21], 3
	s_add_nc_u64 s[50:51], s[50:51], s[46:47]
	s_lshl_b64 s[38:39], s[36:37], 3
	s_mul_u64 s[36:37], s[20:21], s[36:37]
	s_add_nc_u64 s[50:51], s[16:17], s[50:51]
	s_add_nc_u64 s[52:53], s[46:47], s[42:43]
	s_lshl_b64 s[36:37], s[36:37], 3
	v_add_nc_u64_e32 v[6:7], s[50:51], v[10:11]
	s_add_nc_u64 s[50:51], s[16:17], s[52:53]
	v_lshl_add_u64 v[14:15], v[8:9], 3, s[46:47]
	s_add_nc_u64 s[40:41], s[36:37], s[46:47]
	v_add_nc_u64_e32 v[8:9], s[50:51], v[10:11]
	s_lshl_b64 s[50:51], s[48:49], 3
	s_add_nc_u64 s[34:35], s[4:5], s[38:39]
	s_add_nc_u64 s[36:37], s[8:9], s[38:39]
	s_add_nc_u64 s[38:39], s[16:17], s[40:41]
	s_add_nc_u64 s[48:49], s[16:17], s[50:51]
	v_add_nc_u64_e32 v[2:3], s[38:39], v[10:11]
	v_add_nc_u64_e32 v[4:5], s[24:25], v[10:11]
	;; [unrolled: 1-line block ×4, first 2 shown]
	s_add_co_i32 s46, s15, -1
	s_mov_b32 s47, s3
	s_ashr_i32 s13, s12, 31
	s_lshl_b64 s[52:53], s[46:47], 3
	v_cmp_gt_i32_e64 s1, s23, v0
	s_add_nc_u64 s[16:17], s[16:17], s[52:53]
	v_add_nc_u64_e32 v[16:17], 8, v[10:11]
	v_add_nc_u64_e32 v[14:15], s[16:17], v[14:15]
	;; [unrolled: 1-line block ×3, first 2 shown]
	s_mul_u64 s[52:53], s[20:21], s[12:13]
	s_mov_b32 s30, s15
	s_lshl_b64 s[6:7], s[6:7], 3
	s_lshl_b64 s[10:11], s[10:11], 3
	;; [unrolled: 1-line block ×4, first 2 shown]
	s_sub_nc_u64 s[44:45], 0, s[42:43]
	s_add_co_i32 s27, s23, 1
	s_add_nc_u64 s[48:49], s[4:5], s[50:51]
	s_add_nc_u64 s[16:17], s[8:9], s[50:51]
	s_lshl_b64 s[50:51], s[52:53], 3
	s_add_co_i32 s13, s15, 1
	s_branch .LBB30_4
.LBB30_2:                               ;   in Loop: Header=BB30_4 Depth=1
	s_or_b32 exec_lo, exec_lo, s47
.LBB30_3:                               ;   in Loop: Header=BB30_4 Depth=1
	s_add_co_i32 s2, s2, s22
	s_delay_alu instid0(SALU_CYCLE_1)
	s_cmp_ge_u32 s2, s33
	s_cbranch_scc1 .LBB30_108
.LBB30_4:                               ; =>This Loop Header: Depth=1
                                        ;     Child Loop BB30_19 Depth 2
                                        ;       Child Loop BB30_20 Depth 3
                                        ;     Child Loop BB30_26 Depth 2
                                        ;       Child Loop BB30_27 Depth 3
	;; [unrolled: 2-line block ×12, first 2 shown]
	s_mul_u64 s[62:63], s[38:39], s[2:3]
	s_mul_u64 s[54:55], s[18:19], s[2:3]
	v_add_nc_u64_e32 v[20:21], s[62:63], v[16:17]
	s_mul_u64 s[64:65], s[6:7], s[2:3]
	s_mul_u64 s[66:67], s[10:11], s[2:3]
	s_lshl_b64 s[56:57], s[54:55], 3
	s_add_nc_u64 s[52:53], s[4:5], s[64:65]
	s_add_nc_u64 s[54:55], s[8:9], s[66:67]
	;; [unrolled: 1-line block ×3, first 2 shown]
	s_and_b32 vcc_lo, exec_lo, s14
	s_mov_b32 s47, -1
	s_cbranch_vccnz .LBB30_6
; %bb.5:                                ;   in Loop: Header=BB30_4 Depth=1
	s_and_not1_b32 vcc_lo, exec_lo, s47
	s_cbranch_vccnz .LBB30_3
	s_branch .LBB30_103
.LBB30_6:                               ;   in Loop: Header=BB30_4 Depth=1
	s_add_nc_u64 s[58:59], s[48:49], s[64:65]
	s_add_nc_u64 s[60:61], s[16:17], s[66:67]
	s_and_b32 vcc_lo, exec_lo, s76
	s_cbranch_vccz .LBB30_95
; %bb.7:                                ;   in Loop: Header=BB30_4 Depth=1
	s_and_b32 vcc_lo, exec_lo, s77
	s_cbranch_vccz .LBB30_87
; %bb.8:                                ;   in Loop: Header=BB30_4 Depth=1
	;; [unrolled: 3-line block ×3, first 2 shown]
	s_and_b32 vcc_lo, exec_lo, s79
	s_cbranch_vccz .LBB30_71
; %bb.10:                               ;   in Loop: Header=BB30_4 Depth=1
	s_and_b32 vcc_lo, exec_lo, s80
	s_cbranch_vccz .LBB30_63
; %bb.11:                               ;   in Loop: Header=BB30_4 Depth=1
	v_add_nc_u64_e32 v[22:23], s[62:63], v[4:5]
	s_and_b32 vcc_lo, exec_lo, s81
	s_cbranch_vccz .LBB30_55
; %bb.12:                               ;   in Loop: Header=BB30_4 Depth=1
	v_add_nc_u64_e32 v[24:25], s[62:63], v[6:7]
	v_add_nc_u64_e32 v[26:27], s[62:63], v[2:3]
	s_add_nc_u64 s[64:65], s[34:35], s[64:65]
	s_add_nc_u64 s[66:67], s[36:37], s[66:67]
	s_and_b32 vcc_lo, exec_lo, s82
	s_cbranch_vccz .LBB30_46
; %bb.13:                               ;   in Loop: Header=BB30_4 Depth=1
	s_and_b32 vcc_lo, exec_lo, s83
	s_cbranch_vccz .LBB30_38
; %bb.14:                               ;   in Loop: Header=BB30_4 Depth=1
	;; [unrolled: 3-line block ×4, first 2 shown]
	s_and_saveexec_b32 s47, s86
	s_cbranch_execz .LBB30_21
; %bb.17:                               ;   in Loop: Header=BB30_4 Depth=1
	v_mov_b64_e32 v[28:29], v[26:27]
	v_mov_b32_e32 v30, v0
	s_lshl_b64 s[68:69], s[28:29], 3
	s_mov_b32 s74, 0
	s_add_nc_u64 s[68:69], s[56:57], s[68:69]
	s_branch .LBB30_19
.LBB30_18:                              ;   in Loop: Header=BB30_19 Depth=2
	v_ashrrev_i32_e32 v31, 31, v30
	v_add_nc_u64_e32 v[28:29], s[40:41], v[28:29]
	s_delay_alu instid0(VALU_DEP_2)
	v_lshl_add_u64 v[34:35], v[30:31], 3, s[68:69]
	s_wait_xcnt 0x0
	v_add_nc_u32_e32 v30, s12, v30
	s_wait_loadcnt 0x0
	global_store_b64 v[34:35], v[32:33], off
	v_cmp_le_i32_e32 vcc_lo, s15, v30
	s_or_b32 s74, vcc_lo, s74
	s_wait_xcnt 0x0
	s_and_not1_b32 exec_lo, exec_lo, s74
	s_cbranch_execz .LBB30_21
.LBB30_19:                              ;   Parent Loop BB30_4 Depth=1
                                        ; =>  This Loop Header: Depth=2
                                        ;       Child Loop BB30_20 Depth 3
	global_load_b64 v[32:33], v30, s[68:69] scale_offset
	v_mov_b64_e32 v[34:35], v[28:29]
	s_and_not1_b32 vcc_lo, exec_lo, s87
	s_mov_b64 s[70:71], s[66:67]
	s_mov_b64 s[72:73], s[64:65]
	s_mov_b32 s75, s26
	s_cbranch_vccnz .LBB30_18
.LBB30_20:                              ;   Parent Loop BB30_4 Depth=1
                                        ;     Parent Loop BB30_19 Depth=2
                                        ; =>    This Inner Loop Header: Depth=3
	global_load_b64 v[36:37], v[34:35], off
	s_clause 0x1
	global_load_b64 v[38:39], v1, s[72:73]
	global_load_b64 v[40:41], v1, s[70:71]
	s_add_co_i32 s75, s75, -1
	s_wait_xcnt 0x1
	s_add_nc_u64 s[72:73], s[72:73], -8
	s_cmp_eq_u32 s75, 0
	s_wait_xcnt 0x0
	s_add_nc_u64 s[70:71], s[70:71], -8
	s_wait_loadcnt 0x1
	v_mul_f64_e32 v[42:43], v[38:39], v[36:37]
	s_wait_loadcnt 0x0
	v_mul_f64_e32 v[36:37], v[40:41], v[36:37]
	s_delay_alu instid0(VALU_DEP_2) | instskip(NEXT) | instid1(VALU_DEP_2)
	v_fmac_f64_e32 v[42:43], v[32:33], v[40:41]
	v_fma_f64 v[32:33], v[32:33], v[38:39], -v[36:37]
	global_store_b64 v[34:35], v[42:43], off
	s_wait_xcnt 0x0
	v_add_nc_u64_e32 v[34:35], s[44:45], v[34:35]
	s_cbranch_scc0 .LBB30_20
	s_branch .LBB30_18
.LBB30_21:                              ;   in Loop: Header=BB30_4 Depth=1
	s_or_b32 exec_lo, exec_lo, s47
	s_mov_b32 s47, 0
.LBB30_22:                              ;   in Loop: Header=BB30_4 Depth=1
	s_delay_alu instid0(SALU_CYCLE_1)
	s_and_not1_b32 vcc_lo, exec_lo, s47
	s_cbranch_vccnz .LBB30_29
; %bb.23:                               ;   in Loop: Header=BB30_4 Depth=1
	s_and_saveexec_b32 s47, s0
	s_cbranch_execz .LBB30_28
; %bb.24:                               ;   in Loop: Header=BB30_4 Depth=1
	v_mov_b64_e32 v[28:29], v[22:23]
	v_mov_b32_e32 v30, v0
	s_lshl_b64 s[68:69], s[28:29], 3
	s_mov_b32 s74, 0
	s_add_nc_u64 s[68:69], s[56:57], s[68:69]
	s_branch .LBB30_26
.LBB30_25:                              ;   in Loop: Header=BB30_26 Depth=2
	v_ashrrev_i32_e32 v31, 31, v30
	v_add_nc_u64_e32 v[28:29], s[40:41], v[28:29]
	s_delay_alu instid0(VALU_DEP_2)
	v_lshl_add_u64 v[34:35], v[30:31], 3, s[68:69]
	s_wait_xcnt 0x0
	v_add_nc_u32_e32 v30, s12, v30
	s_wait_loadcnt 0x0
	global_store_b64 v[34:35], v[32:33], off
	v_cmp_le_i32_e32 vcc_lo, s15, v30
	s_or_b32 s74, vcc_lo, s74
	s_wait_xcnt 0x0
	s_and_not1_b32 exec_lo, exec_lo, s74
	s_cbranch_execz .LBB30_28
.LBB30_26:                              ;   Parent Loop BB30_4 Depth=1
                                        ; =>  This Loop Header: Depth=2
                                        ;       Child Loop BB30_27 Depth 3
	global_load_b64 v[32:33], v30, s[68:69] scale_offset
	v_mov_b64_e32 v[34:35], v[28:29]
	s_and_not1_b32 vcc_lo, exec_lo, s87
	s_mov_b64 s[70:71], s[54:55]
	s_mov_b64 s[72:73], s[52:53]
	s_mov_b32 s75, s26
	s_cbranch_vccnz .LBB30_25
.LBB30_27:                              ;   Parent Loop BB30_4 Depth=1
                                        ;     Parent Loop BB30_26 Depth=2
                                        ; =>    This Inner Loop Header: Depth=3
	global_load_b64 v[36:37], v[34:35], off
	s_clause 0x1
	global_load_b64 v[38:39], v1, s[72:73]
	global_load_b64 v[40:41], v1, s[70:71]
	s_add_co_i32 s75, s75, -1
	s_wait_xcnt 0x1
	s_add_nc_u64 s[72:73], s[72:73], 8
	s_cmp_eq_u32 s75, 0
	s_wait_xcnt 0x0
	s_add_nc_u64 s[70:71], s[70:71], 8
	s_wait_loadcnt 0x1
	v_mul_f64_e32 v[42:43], v[38:39], v[36:37]
	s_wait_loadcnt 0x0
	v_mul_f64_e32 v[36:37], v[40:41], v[36:37]
	s_delay_alu instid0(VALU_DEP_2) | instskip(NEXT) | instid1(VALU_DEP_2)
	v_fmac_f64_e32 v[42:43], v[32:33], v[40:41]
	v_fma_f64 v[32:33], v[32:33], v[38:39], -v[36:37]
	global_store_b64 v[34:35], v[42:43], off
	s_wait_xcnt 0x0
	v_add_nc_u64_e32 v[34:35], s[42:43], v[34:35]
	s_cbranch_scc0 .LBB30_27
	s_branch .LBB30_25
.LBB30_28:                              ;   in Loop: Header=BB30_4 Depth=1
	s_or_b32 exec_lo, exec_lo, s47
.LBB30_29:                              ;   in Loop: Header=BB30_4 Depth=1
	s_mov_b32 s47, 0
.LBB30_30:                              ;   in Loop: Header=BB30_4 Depth=1
	s_delay_alu instid0(SALU_CYCLE_1)
	s_and_not1_b32 vcc_lo, exec_lo, s47
	s_cbranch_vccnz .LBB30_37
; %bb.31:                               ;   in Loop: Header=BB30_4 Depth=1
	s_and_saveexec_b32 s47, s0
	s_cbranch_execz .LBB30_36
; %bb.32:                               ;   in Loop: Header=BB30_4 Depth=1
	v_mov_b64_e32 v[28:29], v[24:25]
	v_mov_b32_e32 v30, v0
	s_mov_b32 s72, 0
	s_branch .LBB30_34
.LBB30_33:                              ;   in Loop: Header=BB30_34 Depth=2
	v_ashrrev_i32_e32 v31, 31, v30
	v_add_nc_u64_e32 v[28:29], s[40:41], v[28:29]
	s_delay_alu instid0(VALU_DEP_2)
	v_lshl_add_u64 v[34:35], v[30:31], 3, s[56:57]
	s_wait_xcnt 0x0
	v_add_nc_u32_e32 v30, s12, v30
	s_wait_loadcnt 0x0
	global_store_b64 v[34:35], v[32:33], off
	v_cmp_le_i32_e32 vcc_lo, s15, v30
	s_or_b32 s72, vcc_lo, s72
	s_wait_xcnt 0x0
	s_and_not1_b32 exec_lo, exec_lo, s72
	s_cbranch_execz .LBB30_36
.LBB30_34:                              ;   Parent Loop BB30_4 Depth=1
                                        ; =>  This Loop Header: Depth=2
                                        ;       Child Loop BB30_35 Depth 3
	global_load_b64 v[32:33], v30, s[56:57] scale_offset
	v_mov_b64_e32 v[34:35], v[28:29]
	s_and_not1_b32 vcc_lo, exec_lo, s87
	s_mov_b64 s[68:69], s[66:67]
	s_mov_b64 s[70:71], s[64:65]
	s_mov_b32 s73, s27
	s_cbranch_vccnz .LBB30_33
.LBB30_35:                              ;   Parent Loop BB30_4 Depth=1
                                        ;     Parent Loop BB30_34 Depth=2
                                        ; =>    This Inner Loop Header: Depth=3
	s_clause 0x1
	global_load_b64 v[36:37], v1, s[68:69]
	global_load_b64 v[38:39], v1, s[70:71]
	global_load_b64 v[40:41], v[34:35], off
	s_wait_loadcnt 0x3
	v_mov_b64_e32 v[42:43], v[32:33]
	s_add_co_i32 s73, s73, -1
	s_wait_xcnt 0x1
	s_add_nc_u64 s[70:71], s[70:71], -8
	s_cmp_lt_u32 s73, 3
	s_add_nc_u64 s[68:69], s[68:69], -8
	s_wait_loadcnt 0x2
	v_mul_f64_e32 v[44:45], v[42:43], v[36:37]
	s_wait_loadcnt 0x0
	v_mul_f64_e32 v[32:33], v[36:37], v[40:41]
	s_delay_alu instid0(VALU_DEP_2) | instskip(NEXT) | instid1(VALU_DEP_2)
	v_fma_f64 v[36:37], v[38:39], v[40:41], -v[44:45]
	v_fmac_f64_e32 v[32:33], v[42:43], v[38:39]
	global_store_b64 v[34:35], v[36:37], off
	s_wait_xcnt 0x0
	v_add_nc_u64_e32 v[34:35], s[44:45], v[34:35]
	s_cbranch_scc0 .LBB30_35
	s_branch .LBB30_33
.LBB30_36:                              ;   in Loop: Header=BB30_4 Depth=1
	s_or_b32 exec_lo, exec_lo, s47
.LBB30_37:                              ;   in Loop: Header=BB30_4 Depth=1
	s_mov_b32 s47, 0
.LBB30_38:                              ;   in Loop: Header=BB30_4 Depth=1
	s_delay_alu instid0(SALU_CYCLE_1)
	s_and_not1_b32 vcc_lo, exec_lo, s47
	s_cbranch_vccnz .LBB30_45
; %bb.39:                               ;   in Loop: Header=BB30_4 Depth=1
	s_and_saveexec_b32 s47, s0
	s_cbranch_execz .LBB30_44
; %bb.40:                               ;   in Loop: Header=BB30_4 Depth=1
	v_add_nc_u64_e32 v[28:29], s[62:63], v[8:9]
	v_mov_b32_e32 v30, v0
	s_mov_b32 s72, 0
	s_branch .LBB30_42
.LBB30_41:                              ;   in Loop: Header=BB30_42 Depth=2
	v_ashrrev_i32_e32 v31, 31, v30
	v_add_nc_u64_e32 v[28:29], s[40:41], v[28:29]
	s_delay_alu instid0(VALU_DEP_2)
	v_lshl_add_u64 v[34:35], v[30:31], 3, s[56:57]
	s_wait_xcnt 0x0
	v_add_nc_u32_e32 v30, s12, v30
	s_wait_loadcnt 0x0
	global_store_b64 v[34:35], v[32:33], off
	v_cmp_le_i32_e32 vcc_lo, s15, v30
	s_or_b32 s72, vcc_lo, s72
	s_wait_xcnt 0x0
	s_and_not1_b32 exec_lo, exec_lo, s72
	s_cbranch_execz .LBB30_44
.LBB30_42:                              ;   Parent Loop BB30_4 Depth=1
                                        ; =>  This Loop Header: Depth=2
                                        ;       Child Loop BB30_43 Depth 3
	global_load_b64 v[32:33], v30, s[56:57] scale_offset
	v_mov_b64_e32 v[34:35], v[28:29]
	s_and_not1_b32 vcc_lo, exec_lo, s87
	s_mov_b32 s73, s26
	s_mov_b64 s[68:69], s[52:53]
	s_mov_b64 s[70:71], s[54:55]
	s_cbranch_vccnz .LBB30_41
.LBB30_43:                              ;   Parent Loop BB30_4 Depth=1
                                        ;     Parent Loop BB30_42 Depth=2
                                        ; =>    This Inner Loop Header: Depth=3
	s_clause 0x1
	global_load_b64 v[36:37], v1, s[70:71]
	global_load_b64 v[38:39], v1, s[68:69]
	global_load_b64 v[40:41], v[34:35], off
	s_wait_loadcnt 0x3
	v_mov_b64_e32 v[42:43], v[32:33]
	s_add_co_i32 s73, s73, -1
	s_wait_xcnt 0x2
	s_add_nc_u64 s[70:71], s[70:71], 8
	s_cmp_eq_u32 s73, 0
	s_wait_xcnt 0x1
	s_add_nc_u64 s[68:69], s[68:69], 8
	s_wait_loadcnt 0x2
	v_mul_f64_e32 v[44:45], v[42:43], v[36:37]
	s_wait_loadcnt 0x0
	v_mul_f64_e32 v[32:33], v[36:37], v[40:41]
	s_delay_alu instid0(VALU_DEP_2) | instskip(NEXT) | instid1(VALU_DEP_2)
	v_fma_f64 v[36:37], v[38:39], v[40:41], -v[44:45]
	v_fmac_f64_e32 v[32:33], v[42:43], v[38:39]
	global_store_b64 v[34:35], v[36:37], off
	s_wait_xcnt 0x0
	v_add_nc_u64_e32 v[34:35], s[42:43], v[34:35]
	s_cbranch_scc0 .LBB30_43
	s_branch .LBB30_41
.LBB30_44:                              ;   in Loop: Header=BB30_4 Depth=1
	s_or_b32 exec_lo, exec_lo, s47
.LBB30_45:                              ;   in Loop: Header=BB30_4 Depth=1
	s_mov_b32 s47, 0
.LBB30_46:                              ;   in Loop: Header=BB30_4 Depth=1
	s_delay_alu instid0(SALU_CYCLE_1)
	s_and_not1_b32 vcc_lo, exec_lo, s47
	s_cbranch_vccnz .LBB30_54
; %bb.47:                               ;   in Loop: Header=BB30_4 Depth=1
	s_and_saveexec_b32 s47, s0
	s_cbranch_execz .LBB30_53
; %bb.48:                               ;   in Loop: Header=BB30_4 Depth=1
	v_mov_b32_e32 v28, v0
	s_lshl_b64 s[68:69], s[28:29], 3
	s_mov_b32 s89, 0
	s_add_nc_u64 s[68:69], s[56:57], s[68:69]
	s_branch .LBB30_50
.LBB30_49:                              ;   in Loop: Header=BB30_50 Depth=2
	v_ashrrev_i32_e32 v29, 31, v28
	v_add_nc_u64_e32 v[24:25], s[40:41], v[24:25]
	v_add_nc_u64_e32 v[26:27], s[40:41], v[26:27]
	s_wait_xcnt 0x0
	s_delay_alu instid0(VALU_DEP_3)
	v_lshl_add_u64 v[32:33], v[28:29], 3, s[56:57]
	v_add_nc_u32_e32 v28, s12, v28
	s_wait_loadcnt 0x0
	global_store_b64 v[32:33], v[30:31], off
	v_cmp_le_i32_e32 vcc_lo, s15, v28
	s_or_b32 s89, vcc_lo, s89
	s_wait_xcnt 0x0
	s_and_not1_b32 exec_lo, exec_lo, s89
	s_cbranch_execz .LBB30_53
.LBB30_50:                              ;   Parent Loop BB30_4 Depth=1
                                        ; =>  This Loop Header: Depth=2
                                        ;       Child Loop BB30_52 Depth 3
	global_load_b64 v[30:31], v28, s[68:69] scale_offset
	s_and_not1_b32 vcc_lo, exec_lo, s87
	s_cbranch_vccnz .LBB30_49
; %bb.51:                               ;   in Loop: Header=BB30_50 Depth=2
	s_mov_b64 s[70:71], 0
	s_mov_b64 s[72:73], s[66:67]
	;; [unrolled: 1-line block ×3, first 2 shown]
	s_mov_b32 s90, s26
.LBB30_52:                              ;   Parent Loop BB30_4 Depth=1
                                        ;     Parent Loop BB30_50 Depth=2
                                        ; =>    This Inner Loop Header: Depth=3
	s_wait_xcnt 0x0
	v_add_nc_u64_e32 v[32:33], s[70:71], v[26:27]
	s_wait_loadcnt 0x0
	v_mov_b64_e32 v[38:39], v[30:31]
	s_add_co_i32 s90, s90, -1
	s_clause 0x1
	global_load_b64 v[34:35], v1, s[74:75]
	global_load_b64 v[36:37], v1, s[72:73]
	global_load_b64 v[32:33], v[32:33], off
	s_wait_xcnt 0x2
	s_add_nc_u64 s[74:75], s[74:75], -8
	s_cmp_eq_u32 s90, 0
	s_wait_xcnt 0x1
	s_add_nc_u64 s[72:73], s[72:73], -8
	s_wait_loadcnt 0x0
	v_mul_f64_e32 v[40:41], v[36:37], v[32:33]
	v_mul_f64_e32 v[30:31], v[34:35], v[32:33]
	s_wait_xcnt 0x0
	s_delay_alu instid0(VALU_DEP_2) | instskip(NEXT) | instid1(VALU_DEP_2)
	v_fma_f64 v[32:33], v[38:39], v[34:35], -v[40:41]
	v_fmac_f64_e32 v[30:31], v[38:39], v[36:37]
	v_add_nc_u64_e32 v[34:35], s[70:71], v[24:25]
	s_sub_nc_u64 s[70:71], s[70:71], s[42:43]
	global_store_b64 v[34:35], v[32:33], off
	s_cbranch_scc0 .LBB30_52
	s_branch .LBB30_49
.LBB30_53:                              ;   in Loop: Header=BB30_4 Depth=1
	s_or_b32 exec_lo, exec_lo, s47
.LBB30_54:                              ;   in Loop: Header=BB30_4 Depth=1
	s_mov_b32 s47, 0
.LBB30_55:                              ;   in Loop: Header=BB30_4 Depth=1
	s_delay_alu instid0(SALU_CYCLE_1)
	s_and_not1_b32 vcc_lo, exec_lo, s47
	s_cbranch_vccnz .LBB30_62
; %bb.56:                               ;   in Loop: Header=BB30_4 Depth=1
	s_and_saveexec_b32 s47, s0
	s_cbranch_execz .LBB30_61
; %bb.57:                               ;   in Loop: Header=BB30_4 Depth=1
	v_mov_b32_e32 v24, v0
	s_lshl_b64 s[64:65], s[28:29], 3
	s_mov_b32 s70, 0
	s_add_nc_u64 s[64:65], s[56:57], s[64:65]
	s_branch .LBB30_59
.LBB30_58:                              ;   in Loop: Header=BB30_59 Depth=2
	v_ashrrev_i32_e32 v25, 31, v24
	v_add_nc_u64_e32 v[22:23], s[40:41], v[22:23]
	s_delay_alu instid0(VALU_DEP_2)
	v_lshl_add_u64 v[28:29], v[24:25], 3, s[64:65]
	s_wait_xcnt 0x0
	v_add_nc_u32_e32 v24, s12, v24
	s_wait_loadcnt 0x0
	global_store_b64 v[28:29], v[26:27], off
	v_cmp_le_i32_e32 vcc_lo, s15, v24
	s_or_b32 s70, vcc_lo, s70
	s_wait_xcnt 0x0
	s_and_not1_b32 exec_lo, exec_lo, s70
	s_cbranch_execz .LBB30_61
.LBB30_59:                              ;   Parent Loop BB30_4 Depth=1
                                        ; =>  This Loop Header: Depth=2
                                        ;       Child Loop BB30_60 Depth 3
	global_load_b64 v[26:27], v24, s[56:57] scale_offset
	v_mov_b64_e32 v[28:29], v[22:23]
	s_and_not1_b32 vcc_lo, exec_lo, s87
	s_mov_b64 s[66:67], s[54:55]
	s_mov_b64 s[68:69], s[52:53]
	s_mov_b32 s71, s26
	s_cbranch_vccnz .LBB30_58
.LBB30_60:                              ;   Parent Loop BB30_4 Depth=1
                                        ;     Parent Loop BB30_59 Depth=2
                                        ; =>    This Inner Loop Header: Depth=3
	s_delay_alu instid0(VALU_DEP_1)
	v_add_nc_u64_e32 v[30:31], s[42:43], v[28:29]
	s_add_co_i32 s71, s71, -1
	global_load_b64 v[32:33], v[30:31], off
	s_clause 0x1
	global_load_b64 v[34:35], v1, s[66:67]
	global_load_b64 v[36:37], v1, s[68:69]
	s_wait_xcnt 0x0
	s_add_nc_u64 s[68:69], s[68:69], 8
	s_cmp_eq_u32 s71, 0
	s_add_nc_u64 s[66:67], s[66:67], 8
	s_wait_loadcnt 0x1
	v_mul_f64_e32 v[38:39], v[34:35], v[32:33]
	v_mul_f64_e32 v[34:35], v[26:27], v[34:35]
	s_wait_loadcnt 0x0
	s_delay_alu instid0(VALU_DEP_2) | instskip(NEXT) | instid1(VALU_DEP_2)
	v_fmac_f64_e32 v[38:39], v[26:27], v[36:37]
	v_fma_f64 v[26:27], v[36:37], v[32:33], -v[34:35]
	global_store_b64 v[28:29], v[38:39], off
	s_wait_xcnt 0x0
	v_mov_b64_e32 v[28:29], v[30:31]
	s_cbranch_scc0 .LBB30_60
	s_branch .LBB30_58
.LBB30_61:                              ;   in Loop: Header=BB30_4 Depth=1
	s_or_b32 exec_lo, exec_lo, s47
.LBB30_62:                              ;   in Loop: Header=BB30_4 Depth=1
	s_mov_b32 s47, 0
.LBB30_63:                              ;   in Loop: Header=BB30_4 Depth=1
	s_delay_alu instid0(SALU_CYCLE_1)
	s_and_not1_b32 vcc_lo, exec_lo, s47
	s_cbranch_vccnz .LBB30_70
; %bb.64:                               ;   in Loop: Header=BB30_4 Depth=1
	s_and_saveexec_b32 s47, s1
	s_cbranch_execz .LBB30_69
; %bb.65:                               ;   in Loop: Header=BB30_4 Depth=1
	v_add_nc_u64_e32 v[22:23], s[62:63], v[12:13]
	v_mov_b32_e32 v24, v0
	s_lshl_b64 s[64:65], s[30:31], 3
	s_mov_b32 s70, 0
	s_add_nc_u64 s[64:65], s[56:57], s[64:65]
	s_branch .LBB30_67
.LBB30_66:                              ;   in Loop: Header=BB30_67 Depth=2
	v_add_nc_u32_e32 v24, s12, v24
	v_add_nc_u64_e32 v[22:23], s[50:51], v[22:23]
	s_wait_loadcnt 0x0
	global_store_b64 v[26:27], v[28:29], off offset:-8
	v_cmp_le_i32_e32 vcc_lo, s23, v24
	s_or_b32 s70, vcc_lo, s70
	s_wait_xcnt 0x0
	s_and_not1_b32 exec_lo, exec_lo, s70
	s_cbranch_execz .LBB30_69
.LBB30_67:                              ;   Parent Loop BB30_4 Depth=1
                                        ; =>  This Loop Header: Depth=2
                                        ;       Child Loop BB30_68 Depth 3
	v_ashrrev_i32_e32 v25, 31, v24
	v_mov_b64_e32 v[30:31], v[22:23]
	s_and_not1_b32 vcc_lo, exec_lo, s88
	s_mov_b64 s[66:67], s[60:61]
	s_mov_b64 s[68:69], s[58:59]
	v_mul_u64_e32 v[26:27], s[20:21], v[24:25]
	s_mov_b32 s71, s46
	s_delay_alu instid0(VALU_DEP_1)
	v_lshl_add_u64 v[26:27], v[26:27], 3, s[64:65]
	global_load_b64 v[28:29], v[26:27], off offset:-8
	s_cbranch_vccnz .LBB30_66
.LBB30_68:                              ;   Parent Loop BB30_4 Depth=1
                                        ;     Parent Loop BB30_67 Depth=2
                                        ; =>    This Inner Loop Header: Depth=3
	global_load_b64 v[32:33], v[30:31], off
	s_clause 0x1
	global_load_b64 v[34:35], v1, s[68:69]
	global_load_b64 v[36:37], v1, s[66:67]
	s_add_co_i32 s71, s71, -1
	s_wait_xcnt 0x1
	s_add_nc_u64 s[68:69], s[68:69], -8
	s_cmp_eq_u32 s71, 0
	s_wait_xcnt 0x0
	s_add_nc_u64 s[66:67], s[66:67], -8
	s_wait_loadcnt 0x1
	v_mul_f64_e32 v[38:39], v[34:35], v[32:33]
	s_wait_loadcnt 0x0
	v_mul_f64_e32 v[32:33], v[36:37], v[32:33]
	s_delay_alu instid0(VALU_DEP_2) | instskip(NEXT) | instid1(VALU_DEP_2)
	v_fmac_f64_e32 v[38:39], v[28:29], v[36:37]
	v_fma_f64 v[28:29], v[28:29], v[34:35], -v[32:33]
	global_store_b64 v[30:31], v[38:39], off
	s_wait_xcnt 0x0
	v_add_nc_u64_e32 v[30:31], -8, v[30:31]
	s_cbranch_scc0 .LBB30_68
	s_branch .LBB30_66
.LBB30_69:                              ;   in Loop: Header=BB30_4 Depth=1
	s_or_b32 exec_lo, exec_lo, s47
.LBB30_70:                              ;   in Loop: Header=BB30_4 Depth=1
	s_mov_b32 s47, 0
.LBB30_71:                              ;   in Loop: Header=BB30_4 Depth=1
	s_delay_alu instid0(SALU_CYCLE_1)
	s_and_not1_b32 vcc_lo, exec_lo, s47
	s_cbranch_vccnz .LBB30_78
; %bb.72:                               ;   in Loop: Header=BB30_4 Depth=1
	s_and_saveexec_b32 s47, s1
	s_cbranch_execz .LBB30_77
; %bb.73:                               ;   in Loop: Header=BB30_4 Depth=1
	v_add_nc_u64_e32 v[22:23], s[62:63], v[10:11]
	v_mov_b32_e32 v24, v0
	s_lshl_b64 s[64:65], s[30:31], 3
	s_mov_b32 s70, 0
	s_add_nc_u64 s[64:65], s[56:57], s[64:65]
	s_branch .LBB30_75
.LBB30_74:                              ;   in Loop: Header=BB30_75 Depth=2
	v_add_nc_u32_e32 v24, s12, v24
	v_add_nc_u64_e32 v[22:23], s[50:51], v[22:23]
	s_wait_loadcnt 0x0
	global_store_b64 v[26:27], v[28:29], off offset:-8
	v_cmp_le_i32_e32 vcc_lo, s23, v24
	s_or_b32 s70, vcc_lo, s70
	s_wait_xcnt 0x0
	s_and_not1_b32 exec_lo, exec_lo, s70
	s_cbranch_execz .LBB30_77
.LBB30_75:                              ;   Parent Loop BB30_4 Depth=1
                                        ; =>  This Loop Header: Depth=2
                                        ;       Child Loop BB30_76 Depth 3
	v_ashrrev_i32_e32 v25, 31, v24
	v_mov_b64_e32 v[30:31], v[22:23]
	s_and_not1_b32 vcc_lo, exec_lo, s88
	s_mov_b64 s[66:67], s[54:55]
	s_mov_b64 s[68:69], s[52:53]
	v_mul_u64_e32 v[26:27], s[20:21], v[24:25]
	s_mov_b32 s71, s46
	s_delay_alu instid0(VALU_DEP_1)
	v_lshl_add_u64 v[26:27], v[26:27], 3, s[64:65]
	global_load_b64 v[28:29], v[26:27], off offset:-8
	s_cbranch_vccnz .LBB30_74
.LBB30_76:                              ;   Parent Loop BB30_4 Depth=1
                                        ;     Parent Loop BB30_75 Depth=2
                                        ; =>    This Inner Loop Header: Depth=3
	global_load_b64 v[32:33], v[30:31], off
	s_clause 0x1
	global_load_b64 v[34:35], v1, s[68:69]
	global_load_b64 v[36:37], v1, s[66:67]
	s_add_co_i32 s71, s71, -1
	s_wait_xcnt 0x1
	s_add_nc_u64 s[68:69], s[68:69], 8
	s_cmp_eq_u32 s71, 0
	s_wait_xcnt 0x0
	s_add_nc_u64 s[66:67], s[66:67], 8
	s_wait_loadcnt 0x1
	v_mul_f64_e32 v[38:39], v[34:35], v[32:33]
	s_wait_loadcnt 0x0
	v_mul_f64_e32 v[32:33], v[36:37], v[32:33]
	s_delay_alu instid0(VALU_DEP_2) | instskip(NEXT) | instid1(VALU_DEP_2)
	v_fmac_f64_e32 v[38:39], v[28:29], v[36:37]
	v_fma_f64 v[28:29], v[28:29], v[34:35], -v[32:33]
	global_store_b64 v[30:31], v[38:39], off
	s_wait_xcnt 0x0
	v_add_nc_u64_e32 v[30:31], 8, v[30:31]
	s_cbranch_scc0 .LBB30_76
	s_branch .LBB30_74
.LBB30_77:                              ;   in Loop: Header=BB30_4 Depth=1
	s_or_b32 exec_lo, exec_lo, s47
.LBB30_78:                              ;   in Loop: Header=BB30_4 Depth=1
	s_mov_b32 s47, 0
.LBB30_79:                              ;   in Loop: Header=BB30_4 Depth=1
	s_delay_alu instid0(SALU_CYCLE_1)
	s_and_not1_b32 vcc_lo, exec_lo, s47
	s_cbranch_vccnz .LBB30_86
; %bb.80:                               ;   in Loop: Header=BB30_4 Depth=1
	s_and_saveexec_b32 s47, s1
	s_cbranch_execz .LBB30_85
; %bb.81:                               ;   in Loop: Header=BB30_4 Depth=1
	v_add_nc_u64_e32 v[22:23], s[62:63], v[14:15]
	v_mov_b32_e32 v24, v0
	s_mov_b32 s68, 0
	s_branch .LBB30_83
.LBB30_82:                              ;   in Loop: Header=BB30_83 Depth=2
	v_add_nc_u32_e32 v24, s12, v24
	v_add_nc_u64_e32 v[22:23], s[50:51], v[22:23]
	s_wait_loadcnt 0x0
	global_store_b64 v[26:27], v[28:29], off
	v_cmp_le_i32_e32 vcc_lo, s23, v24
	s_or_b32 s68, vcc_lo, s68
	s_wait_xcnt 0x0
	s_and_not1_b32 exec_lo, exec_lo, s68
	s_cbranch_execz .LBB30_85
.LBB30_83:                              ;   Parent Loop BB30_4 Depth=1
                                        ; =>  This Loop Header: Depth=2
                                        ;       Child Loop BB30_84 Depth 3
	s_delay_alu instid0(VALU_DEP_1) | instskip(NEXT) | instid1(VALU_DEP_3)
	v_ashrrev_i32_e32 v25, 31, v24
	v_mov_b64_e32 v[30:31], v[22:23]
	s_and_not1_b32 vcc_lo, exec_lo, s88
	s_mov_b64 s[64:65], s[60:61]
	s_mov_b64 s[66:67], s[58:59]
	v_mul_u64_e32 v[26:27], s[20:21], v[24:25]
	s_mov_b32 s69, s13
	s_delay_alu instid0(VALU_DEP_1)
	v_lshl_add_u64 v[26:27], v[26:27], 3, s[56:57]
	global_load_b64 v[28:29], v[26:27], off
	s_cbranch_vccnz .LBB30_82
.LBB30_84:                              ;   Parent Loop BB30_4 Depth=1
                                        ;     Parent Loop BB30_83 Depth=2
                                        ; =>    This Inner Loop Header: Depth=3
	s_clause 0x1
	global_load_b64 v[32:33], v1, s[64:65]
	global_load_b64 v[34:35], v1, s[66:67]
	global_load_b64 v[36:37], v[30:31], off
	s_wait_loadcnt 0x3
	v_mov_b64_e32 v[38:39], v[28:29]
	s_add_co_i32 s69, s69, -1
	s_wait_xcnt 0x1
	s_add_nc_u64 s[66:67], s[66:67], -8
	s_cmp_lt_u32 s69, 3
	s_add_nc_u64 s[64:65], s[64:65], -8
	s_wait_loadcnt 0x2
	v_mul_f64_e32 v[40:41], v[38:39], v[32:33]
	s_wait_loadcnt 0x0
	v_mul_f64_e32 v[28:29], v[32:33], v[36:37]
	s_delay_alu instid0(VALU_DEP_2) | instskip(NEXT) | instid1(VALU_DEP_2)
	v_fma_f64 v[32:33], v[34:35], v[36:37], -v[40:41]
	v_fmac_f64_e32 v[28:29], v[38:39], v[34:35]
	global_store_b64 v[30:31], v[32:33], off
	s_wait_xcnt 0x0
	v_add_nc_u64_e32 v[30:31], -8, v[30:31]
	s_cbranch_scc0 .LBB30_84
	s_branch .LBB30_82
.LBB30_85:                              ;   in Loop: Header=BB30_4 Depth=1
	s_or_b32 exec_lo, exec_lo, s47
.LBB30_86:                              ;   in Loop: Header=BB30_4 Depth=1
	s_mov_b32 s47, 0
.LBB30_87:                              ;   in Loop: Header=BB30_4 Depth=1
	s_delay_alu instid0(SALU_CYCLE_1)
	s_and_not1_b32 vcc_lo, exec_lo, s47
	s_cbranch_vccnz .LBB30_94
; %bb.88:                               ;   in Loop: Header=BB30_4 Depth=1
	s_and_saveexec_b32 s47, s1
	s_cbranch_execz .LBB30_93
; %bb.89:                               ;   in Loop: Header=BB30_4 Depth=1
	v_mov_b64_e32 v[22:23], v[20:21]
	v_mov_b32_e32 v24, v0
	s_mov_b32 s68, 0
	s_branch .LBB30_91
.LBB30_90:                              ;   in Loop: Header=BB30_91 Depth=2
	v_add_nc_u32_e32 v24, s12, v24
	v_add_nc_u64_e32 v[22:23], s[50:51], v[22:23]
	s_wait_loadcnt 0x0
	global_store_b64 v[26:27], v[28:29], off
	v_cmp_le_i32_e32 vcc_lo, s23, v24
	s_or_b32 s68, vcc_lo, s68
	s_wait_xcnt 0x0
	s_and_not1_b32 exec_lo, exec_lo, s68
	s_cbranch_execz .LBB30_93
.LBB30_91:                              ;   Parent Loop BB30_4 Depth=1
                                        ; =>  This Loop Header: Depth=2
                                        ;       Child Loop BB30_92 Depth 3
	s_delay_alu instid0(VALU_DEP_1) | instskip(NEXT) | instid1(VALU_DEP_3)
	v_ashrrev_i32_e32 v25, 31, v24
	v_mov_b64_e32 v[30:31], v[22:23]
	s_and_not1_b32 vcc_lo, exec_lo, s88
	s_mov_b32 s69, s46
	s_mov_b64 s[64:65], s[52:53]
	v_mul_u64_e32 v[26:27], s[20:21], v[24:25]
	s_mov_b64 s[66:67], s[54:55]
	s_delay_alu instid0(VALU_DEP_1)
	v_lshl_add_u64 v[26:27], v[26:27], 3, s[56:57]
	global_load_b64 v[28:29], v[26:27], off
	s_cbranch_vccnz .LBB30_90
.LBB30_92:                              ;   Parent Loop BB30_4 Depth=1
                                        ;     Parent Loop BB30_91 Depth=2
                                        ; =>    This Inner Loop Header: Depth=3
	s_clause 0x1
	global_load_b64 v[32:33], v1, s[66:67]
	global_load_b64 v[34:35], v1, s[64:65]
	global_load_b64 v[36:37], v[30:31], off
	s_wait_loadcnt 0x3
	v_mov_b64_e32 v[38:39], v[28:29]
	s_add_co_i32 s69, s69, -1
	s_wait_xcnt 0x2
	s_add_nc_u64 s[66:67], s[66:67], 8
	s_cmp_eq_u32 s69, 0
	s_wait_xcnt 0x1
	s_add_nc_u64 s[64:65], s[64:65], 8
	s_wait_loadcnt 0x2
	v_mul_f64_e32 v[40:41], v[38:39], v[32:33]
	s_wait_loadcnt 0x0
	v_mul_f64_e32 v[28:29], v[32:33], v[36:37]
	s_delay_alu instid0(VALU_DEP_2) | instskip(NEXT) | instid1(VALU_DEP_2)
	v_fma_f64 v[32:33], v[34:35], v[36:37], -v[40:41]
	v_fmac_f64_e32 v[28:29], v[38:39], v[34:35]
	global_store_b64 v[30:31], v[32:33], off
	s_wait_xcnt 0x0
	v_add_nc_u64_e32 v[30:31], 8, v[30:31]
	s_cbranch_scc0 .LBB30_92
	s_branch .LBB30_90
.LBB30_93:                              ;   in Loop: Header=BB30_4 Depth=1
	s_or_b32 exec_lo, exec_lo, s47
.LBB30_94:                              ;   in Loop: Header=BB30_4 Depth=1
	s_mov_b32 s47, 0
.LBB30_95:                              ;   in Loop: Header=BB30_4 Depth=1
	s_delay_alu instid0(SALU_CYCLE_1)
	s_and_not1_b32 vcc_lo, exec_lo, s47
	s_cbranch_vccnz .LBB30_102
; %bb.96:                               ;   in Loop: Header=BB30_4 Depth=1
	s_and_saveexec_b32 s47, s1
	s_cbranch_execz .LBB30_101
; %bb.97:                               ;   in Loop: Header=BB30_4 Depth=1
	v_add_nc_u64_e32 v[22:23], s[62:63], v[18:19]
	v_mov_b32_e32 v24, v0
	s_lshl_b64 s[62:63], s[30:31], 3
	s_mov_b32 s68, 0
	s_add_nc_u64 s[62:63], s[56:57], s[62:63]
	s_branch .LBB30_99
.LBB30_98:                              ;   in Loop: Header=BB30_99 Depth=2
	v_add_nc_u32_e32 v24, s12, v24
	v_add_nc_u64_e32 v[22:23], s[50:51], v[22:23]
	v_lshl_add_u64 v[26:27], v[26:27], 3, s[56:57]
	s_delay_alu instid0(VALU_DEP_3)
	v_cmp_le_i32_e32 vcc_lo, s23, v24
	s_wait_loadcnt 0x0
	global_store_b64 v[26:27], v[28:29], off
	s_or_b32 s68, vcc_lo, s68
	s_wait_xcnt 0x0
	s_and_not1_b32 exec_lo, exec_lo, s68
	s_cbranch_execz .LBB30_101
.LBB30_99:                              ;   Parent Loop BB30_4 Depth=1
                                        ; =>  This Loop Header: Depth=2
                                        ;       Child Loop BB30_100 Depth 3
	v_ashrrev_i32_e32 v25, 31, v24
	v_mov_b64_e32 v[30:31], v[22:23]
	s_and_not1_b32 vcc_lo, exec_lo, s88
	s_mov_b64 s[64:65], s[60:61]
	s_mov_b64 s[66:67], s[58:59]
	v_mul_u64_e32 v[26:27], s[20:21], v[24:25]
	s_mov_b32 s69, s46
	s_delay_alu instid0(VALU_DEP_1)
	v_lshl_add_u64 v[28:29], v[26:27], 3, s[62:63]
	global_load_b64 v[28:29], v[28:29], off offset:-8
	s_cbranch_vccnz .LBB30_98
.LBB30_100:                             ;   Parent Loop BB30_4 Depth=1
                                        ;     Parent Loop BB30_99 Depth=2
                                        ; =>    This Inner Loop Header: Depth=3
	global_load_b64 v[32:33], v[30:31], off offset:-8
	s_clause 0x1
	global_load_b64 v[34:35], v1, s[64:65]
	global_load_b64 v[36:37], v1, s[66:67]
	s_wait_loadcnt 0x3
	v_mov_b64_e32 v[40:41], v[28:29]
	s_add_co_i32 s69, s69, -1
	s_wait_xcnt 0x0
	s_add_nc_u64 s[66:67], s[66:67], -8
	s_cmp_eq_u32 s69, 0
	s_add_nc_u64 s[64:65], s[64:65], -8
	s_wait_loadcnt 0x1
	v_mul_f64_e32 v[38:39], v[34:35], v[32:33]
	s_wait_loadcnt 0x0
	v_mul_f64_e32 v[28:29], v[36:37], v[32:33]
	s_delay_alu instid0(VALU_DEP_2) | instskip(NEXT) | instid1(VALU_DEP_2)
	v_fma_f64 v[32:33], v[40:41], v[36:37], -v[38:39]
	v_fmac_f64_e32 v[28:29], v[40:41], v[34:35]
	v_add_nc_u64_e32 v[34:35], -8, v[30:31]
	global_store_b64 v[30:31], v[32:33], off
	s_wait_xcnt 0x0
	v_mov_b64_e32 v[30:31], v[34:35]
	s_cbranch_scc0 .LBB30_100
	s_branch .LBB30_98
.LBB30_101:                             ;   in Loop: Header=BB30_4 Depth=1
	s_or_b32 exec_lo, exec_lo, s47
.LBB30_102:                             ;   in Loop: Header=BB30_4 Depth=1
	s_cbranch_execnz .LBB30_3
.LBB30_103:                             ;   in Loop: Header=BB30_4 Depth=1
	s_and_saveexec_b32 s47, s1
	s_cbranch_execz .LBB30_2
; %bb.104:                              ;   in Loop: Header=BB30_4 Depth=1
	v_mov_b32_e32 v22, v0
	s_lshl_b64 s[58:59], s[30:31], 3
	s_mov_b32 s64, 0
	s_add_nc_u64 s[58:59], s[56:57], s[58:59]
	s_branch .LBB30_106
.LBB30_105:                             ;   in Loop: Header=BB30_106 Depth=2
	v_add_nc_u32_e32 v22, s12, v22
	v_add_nc_u64_e32 v[20:21], s[50:51], v[20:21]
	v_lshl_add_u64 v[24:25], v[24:25], 3, s[58:59]
	s_delay_alu instid0(VALU_DEP_3)
	v_cmp_le_i32_e32 vcc_lo, s23, v22
	s_wait_loadcnt 0x0
	global_store_b64 v[24:25], v[26:27], off offset:-8
	s_or_b32 s64, vcc_lo, s64
	s_wait_xcnt 0x0
	s_and_not1_b32 exec_lo, exec_lo, s64
	s_cbranch_execz .LBB30_2
.LBB30_106:                             ;   Parent Loop BB30_4 Depth=1
                                        ; =>  This Loop Header: Depth=2
                                        ;       Child Loop BB30_107 Depth 3
	v_ashrrev_i32_e32 v23, 31, v22
	v_mov_b64_e32 v[28:29], v[20:21]
	s_and_not1_b32 vcc_lo, exec_lo, s88
	s_mov_b64 s[60:61], s[54:55]
	s_mov_b64 s[62:63], s[52:53]
	v_mul_u64_e32 v[24:25], s[20:21], v[22:23]
	s_mov_b32 s65, s46
	s_delay_alu instid0(VALU_DEP_1)
	v_lshl_add_u64 v[26:27], v[24:25], 3, s[56:57]
	global_load_b64 v[26:27], v[26:27], off
	s_cbranch_vccnz .LBB30_105
.LBB30_107:                             ;   Parent Loop BB30_4 Depth=1
                                        ;     Parent Loop BB30_106 Depth=2
                                        ; =>    This Inner Loop Header: Depth=3
	global_load_b64 v[30:31], v[28:29], off
	s_clause 0x1
	global_load_b64 v[32:33], v1, s[60:61]
	global_load_b64 v[34:35], v1, s[62:63]
	s_add_co_i32 s65, s65, -1
	s_wait_xcnt 0x0
	s_add_nc_u64 s[62:63], s[62:63], 8
	s_cmp_eq_u32 s65, 0
	s_add_nc_u64 s[60:61], s[60:61], 8
	s_wait_loadcnt 0x1
	v_mul_f64_e32 v[36:37], v[32:33], v[30:31]
	v_mul_f64_e32 v[32:33], v[26:27], v[32:33]
	s_wait_loadcnt 0x0
	s_delay_alu instid0(VALU_DEP_2) | instskip(NEXT) | instid1(VALU_DEP_2)
	v_fmac_f64_e32 v[36:37], v[26:27], v[34:35]
	v_fma_f64 v[26:27], v[34:35], v[30:31], -v[32:33]
	global_store_b64 v[28:29], v[36:37], off offset:-8
	s_wait_xcnt 0x0
	v_add_nc_u64_e32 v[28:29], 8, v[28:29]
	s_cbranch_scc0 .LBB30_107
	s_branch .LBB30_105
.LBB30_108:
	s_endpgm
	.section	.rodata,"a",@progbits
	.p2align	6, 0x0
	.amdhsa_kernel _ZN9rocsolver6v33100L11lasr_kernelIddPdiEEv13rocblas_side_14rocblas_pivot_15rocblas_direct_T2_S6_PT0_lS8_lT1_lS6_lS6_
		.amdhsa_group_segment_fixed_size 0
		.amdhsa_private_segment_fixed_size 0
		.amdhsa_kernarg_size 352
		.amdhsa_user_sgpr_count 2
		.amdhsa_user_sgpr_dispatch_ptr 0
		.amdhsa_user_sgpr_queue_ptr 0
		.amdhsa_user_sgpr_kernarg_segment_ptr 1
		.amdhsa_user_sgpr_dispatch_id 0
		.amdhsa_user_sgpr_kernarg_preload_length 0
		.amdhsa_user_sgpr_kernarg_preload_offset 0
		.amdhsa_user_sgpr_private_segment_size 0
		.amdhsa_wavefront_size32 1
		.amdhsa_uses_dynamic_stack 0
		.amdhsa_enable_private_segment 0
		.amdhsa_system_sgpr_workgroup_id_x 1
		.amdhsa_system_sgpr_workgroup_id_y 0
		.amdhsa_system_sgpr_workgroup_id_z 1
		.amdhsa_system_sgpr_workgroup_info 0
		.amdhsa_system_vgpr_workitem_id 0
		.amdhsa_next_free_vgpr 46
		.amdhsa_next_free_sgpr 91
		.amdhsa_named_barrier_count 0
		.amdhsa_reserve_vcc 1
		.amdhsa_float_round_mode_32 0
		.amdhsa_float_round_mode_16_64 0
		.amdhsa_float_denorm_mode_32 3
		.amdhsa_float_denorm_mode_16_64 3
		.amdhsa_fp16_overflow 0
		.amdhsa_memory_ordered 1
		.amdhsa_forward_progress 1
		.amdhsa_inst_pref_size 33
		.amdhsa_round_robin_scheduling 0
		.amdhsa_exception_fp_ieee_invalid_op 0
		.amdhsa_exception_fp_denorm_src 0
		.amdhsa_exception_fp_ieee_div_zero 0
		.amdhsa_exception_fp_ieee_overflow 0
		.amdhsa_exception_fp_ieee_underflow 0
		.amdhsa_exception_fp_ieee_inexact 0
		.amdhsa_exception_int_div_zero 0
	.end_amdhsa_kernel
	.section	.text._ZN9rocsolver6v33100L11lasr_kernelIddPdiEEv13rocblas_side_14rocblas_pivot_15rocblas_direct_T2_S6_PT0_lS8_lT1_lS6_lS6_,"axG",@progbits,_ZN9rocsolver6v33100L11lasr_kernelIddPdiEEv13rocblas_side_14rocblas_pivot_15rocblas_direct_T2_S6_PT0_lS8_lT1_lS6_lS6_,comdat
.Lfunc_end30:
	.size	_ZN9rocsolver6v33100L11lasr_kernelIddPdiEEv13rocblas_side_14rocblas_pivot_15rocblas_direct_T2_S6_PT0_lS8_lT1_lS6_lS6_, .Lfunc_end30-_ZN9rocsolver6v33100L11lasr_kernelIddPdiEEv13rocblas_side_14rocblas_pivot_15rocblas_direct_T2_S6_PT0_lS8_lT1_lS6_lS6_
                                        ; -- End function
	.set _ZN9rocsolver6v33100L11lasr_kernelIddPdiEEv13rocblas_side_14rocblas_pivot_15rocblas_direct_T2_S6_PT0_lS8_lT1_lS6_lS6_.num_vgpr, 46
	.set _ZN9rocsolver6v33100L11lasr_kernelIddPdiEEv13rocblas_side_14rocblas_pivot_15rocblas_direct_T2_S6_PT0_lS8_lT1_lS6_lS6_.num_agpr, 0
	.set _ZN9rocsolver6v33100L11lasr_kernelIddPdiEEv13rocblas_side_14rocblas_pivot_15rocblas_direct_T2_S6_PT0_lS8_lT1_lS6_lS6_.numbered_sgpr, 91
	.set _ZN9rocsolver6v33100L11lasr_kernelIddPdiEEv13rocblas_side_14rocblas_pivot_15rocblas_direct_T2_S6_PT0_lS8_lT1_lS6_lS6_.num_named_barrier, 0
	.set _ZN9rocsolver6v33100L11lasr_kernelIddPdiEEv13rocblas_side_14rocblas_pivot_15rocblas_direct_T2_S6_PT0_lS8_lT1_lS6_lS6_.private_seg_size, 0
	.set _ZN9rocsolver6v33100L11lasr_kernelIddPdiEEv13rocblas_side_14rocblas_pivot_15rocblas_direct_T2_S6_PT0_lS8_lT1_lS6_lS6_.uses_vcc, 1
	.set _ZN9rocsolver6v33100L11lasr_kernelIddPdiEEv13rocblas_side_14rocblas_pivot_15rocblas_direct_T2_S6_PT0_lS8_lT1_lS6_lS6_.uses_flat_scratch, 0
	.set _ZN9rocsolver6v33100L11lasr_kernelIddPdiEEv13rocblas_side_14rocblas_pivot_15rocblas_direct_T2_S6_PT0_lS8_lT1_lS6_lS6_.has_dyn_sized_stack, 0
	.set _ZN9rocsolver6v33100L11lasr_kernelIddPdiEEv13rocblas_side_14rocblas_pivot_15rocblas_direct_T2_S6_PT0_lS8_lT1_lS6_lS6_.has_recursion, 0
	.set _ZN9rocsolver6v33100L11lasr_kernelIddPdiEEv13rocblas_side_14rocblas_pivot_15rocblas_direct_T2_S6_PT0_lS8_lT1_lS6_lS6_.has_indirect_call, 0
	.section	.AMDGPU.csdata,"",@progbits
; Kernel info:
; codeLenInByte = 4192
; TotalNumSgprs: 93
; NumVgprs: 46
; ScratchSize: 0
; MemoryBound: 0
; FloatMode: 240
; IeeeMode: 1
; LDSByteSize: 0 bytes/workgroup (compile time only)
; SGPRBlocks: 0
; VGPRBlocks: 2
; NumSGPRsForWavesPerEU: 93
; NumVGPRsForWavesPerEU: 46
; NamedBarCnt: 0
; Occupancy: 16
; WaveLimiterHint : 0
; COMPUTE_PGM_RSRC2:SCRATCH_EN: 0
; COMPUTE_PGM_RSRC2:USER_SGPR: 2
; COMPUTE_PGM_RSRC2:TRAP_HANDLER: 0
; COMPUTE_PGM_RSRC2:TGID_X_EN: 1
; COMPUTE_PGM_RSRC2:TGID_Y_EN: 0
; COMPUTE_PGM_RSRC2:TGID_Z_EN: 1
; COMPUTE_PGM_RSRC2:TIDIG_COMP_CNT: 0
	.section	.text._ZN9rocsolver6v33100L11swap_kernelIdiEEvT0_PT_S2_S4_S2_,"axG",@progbits,_ZN9rocsolver6v33100L11swap_kernelIdiEEvT0_PT_S2_S4_S2_,comdat
	.globl	_ZN9rocsolver6v33100L11swap_kernelIdiEEvT0_PT_S2_S4_S2_ ; -- Begin function _ZN9rocsolver6v33100L11swap_kernelIdiEEvT0_PT_S2_S4_S2_
	.p2align	8
	.type	_ZN9rocsolver6v33100L11swap_kernelIdiEEvT0_PT_S2_S4_S2_,@function
_ZN9rocsolver6v33100L11swap_kernelIdiEEvT0_PT_S2_S4_S2_: ; @_ZN9rocsolver6v33100L11swap_kernelIdiEEvT0_PT_S2_S4_S2_
; %bb.0:
	s_load_b32 s12, s[0:1], 0x0
	s_wait_kmcnt 0x0
	s_cmp_lt_i32 s12, 1
	s_cbranch_scc1 .LBB31_10
; %bb.1:
	s_clause 0x2
	s_load_b32 s2, s[0:1], 0x34
	s_load_b96 s[4:6], s[0:1], 0x8
	s_load_b96 s[8:10], s[0:1], 0x18
	s_bfe_u32 s3, ttmp6, 0x4000c
	s_wait_xcnt 0x0
	s_load_b32 s0, s[0:1], 0x28
	s_add_co_i32 s3, s3, 1
	s_wait_xcnt 0x0
	s_and_b32 s1, ttmp6, 15
	s_mul_i32 s3, ttmp9, s3
	s_getreg_b32 s7, hwreg(HW_REG_IB_STS2, 6, 4)
	s_add_co_i32 s1, s1, s3
	s_wait_kmcnt 0x0
	s_and_b32 s2, s2, 0xffff
	s_cmp_eq_u32 s7, 0
	s_cselect_b32 s1, ttmp9, s1
	s_cmp_eq_u32 s6, 1
	v_mad_u32 v0, s1, s2, v0
	s_cselect_b32 s1, -1, 0
	s_cmp_eq_u32 s10, 1
	s_mul_i32 s2, s0, s2
	s_cselect_b32 s3, -1, 0
	s_delay_alu instid0(SALU_CYCLE_1) | instskip(NEXT) | instid1(SALU_CYCLE_1)
	s_and_b32 s1, s1, s3
	s_and_b32 vcc_lo, exec_lo, s1
	s_mov_b32 s1, -1
	s_delay_alu instid0(VALU_DEP_1)
	v_cmp_gt_i32_e64 s0, s12, v0
	s_cbranch_vccnz .LBB31_6
; %bb.2:
	s_and_saveexec_b32 s1, s0
	s_cbranch_execz .LBB31_5
; %bb.3:
	v_ashrrev_i32_e32 v1, 31, v0
	s_ashr_i32 s7, s6, 31
	s_ashr_i32 s11, s10, 31
	;; [unrolled: 1-line block ×3, first 2 shown]
	s_delay_alu instid0(SALU_CYCLE_1)
	s_mul_u64 s[14:15], s[6:7], s[2:3]
	v_mul_u64_e32 v[2:3], s[10:11], v[0:1]
	v_mul_u64_e32 v[4:5], s[6:7], v[0:1]
	v_mov_b32_e32 v1, v0
	s_mul_u64 s[10:11], s[10:11], s[2:3]
	s_mov_b32 s3, 0
	s_lshl_b64 s[6:7], s[10:11], 3
	s_lshl_b64 s[10:11], s[14:15], 3
	s_delay_alu instid0(VALU_DEP_3) | instskip(NEXT) | instid1(VALU_DEP_3)
	v_lshl_add_u64 v[2:3], v[2:3], 3, s[8:9]
	v_lshl_add_u64 v[4:5], v[4:5], 3, s[4:5]
.LBB31_4:                               ; =>This Inner Loop Header: Depth=1
	global_load_b64 v[6:7], v[4:5], off
	global_load_b64 v[8:9], v[2:3], off
	v_add_nc_u32_e32 v1, s2, v1
	s_wait_loadcnt 0x1
	global_store_b64 v[2:3], v[6:7], off
	s_wait_loadcnt 0x0
	global_store_b64 v[4:5], v[8:9], off
	v_cmp_le_i32_e32 vcc_lo, s12, v1
	s_wait_xcnt 0x1
	v_add_nc_u64_e32 v[2:3], s[6:7], v[2:3]
	s_wait_xcnt 0x0
	v_add_nc_u64_e32 v[4:5], s[10:11], v[4:5]
	s_or_b32 s3, vcc_lo, s3
	s_delay_alu instid0(SALU_CYCLE_1)
	s_and_not1_b32 exec_lo, exec_lo, s3
	s_cbranch_execnz .LBB31_4
.LBB31_5:
	s_or_b32 exec_lo, exec_lo, s1
	s_mov_b32 s1, 0
.LBB31_6:
	s_delay_alu instid0(SALU_CYCLE_1)
	s_and_not1_b32 vcc_lo, exec_lo, s1
	s_cbranch_vccnz .LBB31_10
; %bb.7:
	s_and_saveexec_b32 s1, s0
	s_cbranch_execz .LBB31_10
; %bb.8:
	v_ashrrev_i32_e32 v1, 31, v0
	s_ashr_i32 s3, s2, 31
	s_delay_alu instid0(SALU_CYCLE_1) | instskip(SKIP_1) | instid1(VALU_DEP_1)
	s_lshl_b64 s[0:1], s[2:3], 3
	s_mov_b32 s3, 0
	v_lshlrev_b64_e32 v[2:3], 3, v[0:1]
.LBB31_9:                               ; =>This Inner Loop Header: Depth=1
	s_delay_alu instid0(VALU_DEP_1)
	v_add_nc_u64_e32 v[4:5], s[4:5], v[2:3]
	v_add_nc_u64_e32 v[6:7], s[8:9], v[2:3]
	v_add_nc_u32_e32 v0, s2, v0
	v_add_nc_u64_e32 v[2:3], s[0:1], v[2:3]
	global_load_b64 v[8:9], v[4:5], off
	global_load_b64 v[10:11], v[6:7], off
	v_cmp_le_i32_e32 vcc_lo, s12, v0
	s_wait_loadcnt 0x1
	global_store_b64 v[6:7], v[8:9], off
	s_wait_loadcnt 0x0
	global_store_b64 v[4:5], v[10:11], off
	s_or_b32 s3, vcc_lo, s3
	s_wait_xcnt 0x0
	s_and_not1_b32 exec_lo, exec_lo, s3
	s_cbranch_execnz .LBB31_9
.LBB31_10:
	s_endpgm
	.section	.rodata,"a",@progbits
	.p2align	6, 0x0
	.amdhsa_kernel _ZN9rocsolver6v33100L11swap_kernelIdiEEvT0_PT_S2_S4_S2_
		.amdhsa_group_segment_fixed_size 0
		.amdhsa_private_segment_fixed_size 0
		.amdhsa_kernarg_size 296
		.amdhsa_user_sgpr_count 2
		.amdhsa_user_sgpr_dispatch_ptr 0
		.amdhsa_user_sgpr_queue_ptr 0
		.amdhsa_user_sgpr_kernarg_segment_ptr 1
		.amdhsa_user_sgpr_dispatch_id 0
		.amdhsa_user_sgpr_kernarg_preload_length 0
		.amdhsa_user_sgpr_kernarg_preload_offset 0
		.amdhsa_user_sgpr_private_segment_size 0
		.amdhsa_wavefront_size32 1
		.amdhsa_uses_dynamic_stack 0
		.amdhsa_enable_private_segment 0
		.amdhsa_system_sgpr_workgroup_id_x 1
		.amdhsa_system_sgpr_workgroup_id_y 0
		.amdhsa_system_sgpr_workgroup_id_z 0
		.amdhsa_system_sgpr_workgroup_info 0
		.amdhsa_system_vgpr_workitem_id 0
		.amdhsa_next_free_vgpr 12
		.amdhsa_next_free_sgpr 16
		.amdhsa_named_barrier_count 0
		.amdhsa_reserve_vcc 1
		.amdhsa_float_round_mode_32 0
		.amdhsa_float_round_mode_16_64 0
		.amdhsa_float_denorm_mode_32 3
		.amdhsa_float_denorm_mode_16_64 3
		.amdhsa_fp16_overflow 0
		.amdhsa_memory_ordered 1
		.amdhsa_forward_progress 1
		.amdhsa_inst_pref_size 4
		.amdhsa_round_robin_scheduling 0
		.amdhsa_exception_fp_ieee_invalid_op 0
		.amdhsa_exception_fp_denorm_src 0
		.amdhsa_exception_fp_ieee_div_zero 0
		.amdhsa_exception_fp_ieee_overflow 0
		.amdhsa_exception_fp_ieee_underflow 0
		.amdhsa_exception_fp_ieee_inexact 0
		.amdhsa_exception_int_div_zero 0
	.end_amdhsa_kernel
	.section	.text._ZN9rocsolver6v33100L11swap_kernelIdiEEvT0_PT_S2_S4_S2_,"axG",@progbits,_ZN9rocsolver6v33100L11swap_kernelIdiEEvT0_PT_S2_S4_S2_,comdat
.Lfunc_end31:
	.size	_ZN9rocsolver6v33100L11swap_kernelIdiEEvT0_PT_S2_S4_S2_, .Lfunc_end31-_ZN9rocsolver6v33100L11swap_kernelIdiEEvT0_PT_S2_S4_S2_
                                        ; -- End function
	.set _ZN9rocsolver6v33100L11swap_kernelIdiEEvT0_PT_S2_S4_S2_.num_vgpr, 12
	.set _ZN9rocsolver6v33100L11swap_kernelIdiEEvT0_PT_S2_S4_S2_.num_agpr, 0
	.set _ZN9rocsolver6v33100L11swap_kernelIdiEEvT0_PT_S2_S4_S2_.numbered_sgpr, 16
	.set _ZN9rocsolver6v33100L11swap_kernelIdiEEvT0_PT_S2_S4_S2_.num_named_barrier, 0
	.set _ZN9rocsolver6v33100L11swap_kernelIdiEEvT0_PT_S2_S4_S2_.private_seg_size, 0
	.set _ZN9rocsolver6v33100L11swap_kernelIdiEEvT0_PT_S2_S4_S2_.uses_vcc, 1
	.set _ZN9rocsolver6v33100L11swap_kernelIdiEEvT0_PT_S2_S4_S2_.uses_flat_scratch, 0
	.set _ZN9rocsolver6v33100L11swap_kernelIdiEEvT0_PT_S2_S4_S2_.has_dyn_sized_stack, 0
	.set _ZN9rocsolver6v33100L11swap_kernelIdiEEvT0_PT_S2_S4_S2_.has_recursion, 0
	.set _ZN9rocsolver6v33100L11swap_kernelIdiEEvT0_PT_S2_S4_S2_.has_indirect_call, 0
	.section	.AMDGPU.csdata,"",@progbits
; Kernel info:
; codeLenInByte = 500
; TotalNumSgprs: 18
; NumVgprs: 12
; ScratchSize: 0
; MemoryBound: 0
; FloatMode: 240
; IeeeMode: 1
; LDSByteSize: 0 bytes/workgroup (compile time only)
; SGPRBlocks: 0
; VGPRBlocks: 0
; NumSGPRsForWavesPerEU: 18
; NumVGPRsForWavesPerEU: 12
; NamedBarCnt: 0
; Occupancy: 16
; WaveLimiterHint : 0
; COMPUTE_PGM_RSRC2:SCRATCH_EN: 0
; COMPUTE_PGM_RSRC2:USER_SGPR: 2
; COMPUTE_PGM_RSRC2:TRAP_HANDLER: 0
; COMPUTE_PGM_RSRC2:TGID_X_EN: 1
; COMPUTE_PGM_RSRC2:TGID_Y_EN: 0
; COMPUTE_PGM_RSRC2:TGID_Z_EN: 0
; COMPUTE_PGM_RSRC2:TIDIG_COMP_CNT: 0
	.text
	.p2align	2                               ; -- Begin function _ZN9rocsolver6v331009run_steqrIddEEviiiPT0_S3_PT_iPiS3_iS2_S2_S2_b
	.type	_ZN9rocsolver6v331009run_steqrIddEEviiiPT0_S3_PT_iPiS3_iS2_S2_S2_b,@function
_ZN9rocsolver6v331009run_steqrIddEEviiiPT0_S3_PT_iPiS3_iS2_S2_S2_b: ; @_ZN9rocsolver6v331009run_steqrIddEEviiiPT0_S3_PT_iPiS3_iS2_S2_S2_b
; %bb.0:
	s_wait_loadcnt_dscnt 0x0
	s_wait_kmcnt 0x0
	s_clause 0x25
	scratch_store_b32 off, v40, s32 offset:148
	; meta instruction
	scratch_store_b32 off, v41, s32 offset:144
	; meta instruction
	;; [unrolled: 2-line block ×37, first 2 shown]
	scratch_store_b32 off, v109, s32
	v_dual_mov_b32 v31, v18 :: v_dual_mov_b32 v30, v17
	v_dual_mov_b32 v18, v3 :: v_dual_mov_b32 v24, v1
	v_dual_mov_b32 v29, v20 :: v_dual_bitop2_b32 v1, 1, v21 bitop3:0x40
	v_dual_mov_b32 v28, v19 :: v_dual_mov_b32 v33, v16
	v_dual_mov_b32 v32, v15 :: v_dual_mov_b32 v16, v9
	;; [unrolled: 1-line block ×4, first 2 shown]
	v_mov_b32_e32 v19, v4
	v_cmp_eq_u32_e64 s1, 1, v1
	v_cmp_eq_u32_e64 s2, 0, v0
	v_cmp_ne_u32_e64 s0, 0, v0
	s_mov_b32 s4, s15
	s_get_pc_i64 s[8:9]
	s_add_nc_u64 s[8:9], s[8:9], llvm.amdgcn.lds.offset.table@rel64+16
	s_get_pc_i64 s[6:7]
	s_add_nc_u64 s[6:7], s[6:7], llvm.amdgcn.lds.offset.table@rel64+32
                                        ; implicit-def: $sgpr11
                                        ; implicit-def: $sgpr10
	s_wait_xcnt 0x0
	s_and_saveexec_b32 s3, s0
	s_delay_alu instid0(SALU_CYCLE_1)
	s_xor_b32 s3, exec_lo, s3
; %bb.1:
	s_ashr_i32 s5, s4, 31
	s_delay_alu instid0(SALU_CYCLE_1) | instskip(NEXT) | instid1(SALU_CYCLE_1)
	s_mul_u64 s[10:11], s[4:5], 36
	s_add_nc_u64 s[12:13], s[8:9], s[10:11]
	s_add_nc_u64 s[14:15], s[6:7], s[10:11]
	s_clause 0x1
	s_load_b32 s10, s[12:13], 0x0
	s_load_b32 s11, s[14:15], 0x0
; %bb.2:
	s_or_saveexec_b32 s3, s3
	v_mov_b64_e32 v[4:5], s[4:5]
	s_wait_kmcnt 0x0
	v_dual_mov_b32 v15, s11 :: v_dual_mov_b32 v90, s10
	s_xor_b32 exec_lo, exec_lo, s3
	s_cbranch_execz .LBB32_4
; %bb.3:
	s_ashr_i32 s5, s4, 31
	s_delay_alu instid0(SALU_CYCLE_1)
	s_mul_u64 s[10:11], s[4:5], 36
	v_mov_b64_e32 v[4:5], s[4:5]
	s_add_nc_u64 s[8:9], s[8:9], s[10:11]
	s_add_nc_u64 s[6:7], s[6:7], s[10:11]
	s_clause 0x1
	s_load_b32 s10, s[8:9], 0x0
	s_load_b32 s11, s[6:7], 0x0
	s_wait_kmcnt 0x0
	v_dual_mov_b32 v1, 0 :: v_dual_mov_b32 v3, s10
	v_dual_mov_b32 v6, s11 :: v_dual_mov_b32 v15, s11
	v_mov_b32_e32 v90, s10
	ds_store_b32 v3, v1
	ds_store_b32 v6, v1
.LBB32_4:
	s_or_b32 exec_lo, exec_lo, s3
	s_wait_storecnt_dscnt 0x0
	s_barrier_signal -1
	s_barrier_wait -1
	ds_load_b32 v36, v90
	ds_load_b32 v1, v15
	s_get_pc_i64 s[4:5]
	s_add_nc_u64 s[4:5], s[4:5], llvm.amdgcn.lds.offset.table@rel64+4
	v_add_nc_u64_e32 v[22:23], 8, v[18:19]
	v_mad_nc_u64_u32 v[20:21], v4, 36, s[4:5]
	v_dual_add_nc_u32 v34, -1, v2 :: v_dual_ashrrev_i32 v25, 31, v24
	s_delay_alu instid0(VALU_DEP_2)
	v_mad_u32 v21, v5, 36, v21
	s_wait_dscnt 0x1
	v_cmp_lt_i32_e32 vcc_lo, v36, v2
	s_wait_dscnt 0x0
	v_cmp_lt_i32_e64 s3, v1, v14
	v_ashrrev_i32_e32 v1, 31, v0
	s_and_b32 s3, vcc_lo, s3
	s_delay_alu instid0(SALU_CYCLE_1)
	s_and_saveexec_b32 s8, s3
	s_cbranch_execz .LBB32_244
; %bb.5:
	v_dual_mul_f64 v[38:39], v[32:33], v[32:33] :: v_dual_ashrrev_i32 v3, 31, v2
	v_dual_ashrrev_i32 v17, 31, v16 :: v_dual_mov_b32 v37, 0
	v_add_nc_u64_e32 v[52:53], 8, v[18:19]
	s_delay_alu instid0(VALU_DEP_3) | instskip(SKIP_1) | instid1(VALU_DEP_4)
	v_lshlrev_b64_e32 v[4:5], 3, v[2:3]
	v_lshlrev_b64_e32 v[64:65], 3, v[24:25]
	;; [unrolled: 1-line block ×3, first 2 shown]
	v_add_nc_u64_e32 v[66:67], -8, v[12:13]
	v_add_nc_u64_e32 v[68:69], -8, v[18:19]
	;; [unrolled: 1-line block ×3, first 2 shown]
	v_mov_b64_e32 v[86:87], 0
	v_add_nc_u64_e32 v[50:51], -8, v[4:5]
	v_add_nc_u64_e32 v[48:49], v[12:13], v[4:5]
	v_sub_nc_u64_e32 v[84:85], 0, v[54:55]
	v_cmp_lt_i32_e64 s3, v0, v2
	v_lshl_add_u64 v[82:83], v[0:1], 3, v[8:9]
	v_mov_b32_e32 v91, v15
	s_mov_b64 s[6:7], 0x3ff6a09e667f3bcd
	v_add_nc_u64_e32 v[80:81], v[12:13], v[50:51]
	s_mov_b32 s9, 0
                                        ; implicit-def: $vgpr112
                                        ; implicit-def: $vgpr114_vgpr115
                                        ; implicit-def: $vgpr96_vgpr97
                                        ; implicit-def: $vgpr98_vgpr99
                                        ; implicit-def: $vgpr92
                                        ; implicit-def: $vgpr100_vgpr101
                                        ; implicit-def: $vgpr93
                                        ; implicit-def: $vgpr116_vgpr117
                                        ; implicit-def: $vgpr102_vgpr103
	s_branch .LBB32_8
.LBB32_6:                               ;   in Loop: Header=BB32_8 Depth=1
	s_or_b32 exec_lo, exec_lo, s4
	v_dual_mov_b32 v6, v91 :: v_dual_mov_b32 v7, v91
	s_wait_storecnt_dscnt 0x0
	s_barrier_signal -1
	s_barrier_wait -1
.LBB32_7:                               ;   in Loop: Header=BB32_8 Depth=1
	s_or_b32 exec_lo, exec_lo, s10
	ds_load_b32 v36, v90
	ds_load_b32 v4, v7
	v_mov_b32_e32 v91, v6
	s_wait_dscnt 0x1
	v_cmp_ge_i32_e32 vcc_lo, v36, v2
	s_wait_dscnt 0x0
	v_cmp_ge_i32_e64 s4, v4, v14
	s_or_b32 s4, vcc_lo, s4
	s_delay_alu instid0(SALU_CYCLE_1) | instskip(NEXT) | instid1(SALU_CYCLE_1)
	s_and_b32 s4, exec_lo, s4
	s_or_b32 s9, s4, s9
	s_delay_alu instid0(SALU_CYCLE_1)
	s_and_not1_b32 exec_lo, exec_lo, s9
	s_cbranch_execz .LBB32_244
.LBB32_8:                               ; =>This Loop Header: Depth=1
                                        ;     Child Loop BB32_133 Depth 2
                                        ;     Child Loop BB32_23 Depth 2
	;; [unrolled: 1-line block ×5, first 2 shown]
                                        ;       Child Loop BB32_84 Depth 3
                                        ;       Child Loop BB32_69 Depth 3
	;; [unrolled: 1-line block ×3, first 2 shown]
                                        ;         Child Loop BB32_128 Depth 4
                                        ;     Child Loop BB32_146 Depth 2
                                        ;       Child Loop BB32_183 Depth 3
                                        ;       Child Loop BB32_168 Depth 3
	;; [unrolled: 1-line block ×3, first 2 shown]
                                        ;         Child Loop BB32_227 Depth 4
                                        ;     Child Loop BB32_237 Depth 2
                                        ;     Child Loop BB32_243 Depth 2
                                        ; implicit-def: $vgpr35
                                        ; implicit-def: $vgpr118
	s_and_saveexec_b32 s4, s0
	s_delay_alu instid0(SALU_CYCLE_1)
	s_xor_b32 s4, exec_lo, s4
	s_cbranch_execz .LBB32_10
; %bb.9:                                ;   in Loop: Header=BB32_8 Depth=1
	s_clause 0x1
	global_load_b64 v[118:119], v[20:21], off offset:20
	global_load_b32 v35, v[20:21], off
.LBB32_10:                              ;   in Loop: Header=BB32_8 Depth=1
	s_wait_xcnt 0x0
	s_and_not1_saveexec_b32 s4, s4
	s_cbranch_execz .LBB32_26
; %bb.11:                               ;   in Loop: Header=BB32_8 Depth=1
	s_mov_b32 s5, exec_lo
	v_cmpx_lt_i32_e32 0, v36
	s_cbranch_execz .LBB32_13
; %bb.12:                               ;   in Loop: Header=BB32_8 Depth=1
	v_lshl_add_u64 v[4:5], v[36:37], 3, v[26:27]
	flat_store_b64 v[4:5], v[86:87] offset:-8
.LBB32_13:                              ;   in Loop: Header=BB32_8 Depth=1
	s_wait_xcnt 0x0
	s_or_b32 exec_lo, exec_lo, s5
	v_ashrrev_i32_e32 v5, 31, v36
	s_mov_b32 s11, 0
	s_mov_b32 s5, 0
	s_mov_b32 s10, exec_lo
	v_cmpx_ge_i32_e64 v36, v34
	s_xor_b32 s10, exec_lo, s10
; %bb.14:                               ;   in Loop: Header=BB32_8 Depth=1
	v_mov_b32_e32 v4, v36
	s_mov_b32 s5, exec_lo
; %bb.15:                               ;   in Loop: Header=BB32_8 Depth=1
	s_or_saveexec_b32 s10, s10
	s_delay_alu instid0(VALU_DEP_1)
	v_mov_b64_e32 v[6:7], v[4:5]
	v_mov_b32_e32 v42, v36
	s_xor_b32 exec_lo, exec_lo, s10
	s_cbranch_execnz .LBB32_131
; %bb.16:                               ;   in Loop: Header=BB32_8 Depth=1
	s_or_b32 exec_lo, exec_lo, s10
	s_and_saveexec_b32 s10, s5
	s_cbranch_execnz .LBB32_138
.LBB32_17:                              ;   in Loop: Header=BB32_8 Depth=1
	s_or_b32 exec_lo, exec_lo, s10
	s_and_saveexec_b32 s5, s11
	s_cbranch_execz .LBB32_19
.LBB32_18:                              ;   in Loop: Header=BB32_8 Depth=1
	s_wait_loadcnt 0x0
	global_load_b32 v35, v[20:21], off offset:4
	v_mov_b64_e32 v[4:5], v[96:97]
	v_mov_b64_e32 v[6:7], v[112:113]
	v_mov_b32_e32 v42, v112
	flat_store_b64 v[114:115], v[86:87]
	s_wait_loadcnt 0x0
	ds_store_b32 v35, v112
.LBB32_19:                              ;   in Loop: Header=BB32_8 Depth=1
	s_wait_xcnt 0x0
	s_or_b32 exec_lo, exec_lo, s5
	v_lshl_add_u64 v[6:7], v[6:7], 3, v[18:19]
	s_wait_loadcnt 0x1
	v_lshl_add_u64 v[118:119], v[4:5], 3, v[18:19]
	s_clause 0x1
	flat_load_b64 v[6:7], v[6:7]
	flat_load_b64 v[118:119], v[118:119]
	s_wait_loadcnt 0x2
	s_clause 0x2
	global_load_b32 v35, v[20:21], off
	global_load_b64 v[40:41], v[20:21], off offset:16
	global_load_b32 v43, v[20:21], off offset:32
	s_wait_loadcnt_dscnt 0x300
	v_cmp_lt_f64_e64 s10, |v[6:7]|, |v[118:119]|
	s_wait_xcnt 0x3
	v_add_nc_u32_e32 v118, 1, v42
	s_wait_loadcnt 0x2
	ds_store_b32 v35, v36
	s_wait_loadcnt 0x1
	ds_store_b32 v40, v36
	ds_store_b32 v41, v42
	s_wait_loadcnt 0x0
	ds_store_b32 v43, v42
	ds_store_b32 v90, v118
	s_wait_xcnt 0x0
	s_and_saveexec_b32 s5, s10
	s_cbranch_execz .LBB32_21
; %bb.20:                               ;   in Loop: Header=BB32_8 Depth=1
	ds_store_b32 v41, v36
	ds_store_b32 v35, v42
.LBB32_21:                              ;   in Loop: Header=BB32_8 Depth=1
	s_or_b32 exec_lo, exec_lo, s5
	v_and_b32_e32 v7, 0x7fffffff, v7
	s_mov_b32 s5, exec_lo
	v_cmpx_lt_i32_e64 v36, v42
	s_cbranch_execz .LBB32_25
; %bb.22:                               ;   in Loop: Header=BB32_8 Depth=1
	v_lshlrev_b64_e32 v[118:119], 3, v[4:5]
	s_mov_b32 s10, 0
	s_delay_alu instid0(VALU_DEP_1)
	v_add_nc_u64_e32 v[4:5], v[26:27], v[118:119]
	v_add_nc_u64_e32 v[118:119], v[18:19], v[118:119]
.LBB32_23:                              ;   Parent Loop BB32_8 Depth=1
                                        ; =>  This Inner Loop Header: Depth=2
	flat_load_b64 v[44:45], v[4:5]
	flat_load_b64 v[46:47], v[118:119]
	v_dual_max_num_f64 v[6:7], v[6:7], v[6:7] :: v_dual_add_nc_u32 v36, 1, v36
	s_wait_xcnt 0x1
	v_add_nc_u64_e32 v[4:5], 8, v[4:5]
	s_wait_xcnt 0x0
	v_add_nc_u64_e32 v[118:119], 8, v[118:119]
	v_cmp_ge_i32_e32 vcc_lo, v36, v42
	s_or_b32 s10, vcc_lo, s10
	s_wait_loadcnt_dscnt 0x101
	v_max_num_f64_e64 v[44:45], |v[44:45]|, |v[44:45]|
	s_wait_loadcnt_dscnt 0x0
	v_max_num_f64_e64 v[46:47], |v[46:47]|, |v[46:47]|
	s_delay_alu instid0(VALU_DEP_1) | instskip(NEXT) | instid1(VALU_DEP_1)
	v_max_num_f64_e32 v[44:45], v[46:47], v[44:45]
	v_max_num_f64_e32 v[6:7], v[6:7], v[44:45]
	s_and_not1_b32 exec_lo, exec_lo, s10
	s_cbranch_execnz .LBB32_23
; %bb.24:                               ;   in Loop: Header=BB32_8 Depth=1
	s_or_b32 exec_lo, exec_lo, s10
.LBB32_25:                              ;   in Loop: Header=BB32_8 Depth=1
	s_delay_alu instid0(SALU_CYCLE_1)
	s_or_b32 exec_lo, exec_lo, s5
	global_load_b32 v119, v[20:21], off offset:24
	v_mov_b32_e32 v118, v41
	s_wait_loadcnt 0x0
	ds_store_b64 v119, v[6:7]
.LBB32_26:                              ;   in Loop: Header=BB32_8 Depth=1
	s_wait_xcnt 0x0
	s_or_b32 exec_lo, exec_lo, s4
	s_wait_storecnt 0x0
	s_wait_loadcnt_dscnt 0x0
	s_barrier_signal -1
	s_barrier_wait -1
	ds_load_b64 v[4:5], v119
	ds_load_b32 v6, v118
	ds_load_b32 v7, v35
	s_wait_dscnt 0x2
	v_cmp_neq_f64_e32 vcc_lo, 0, v[4:5]
	s_wait_dscnt 0x0
	v_cmp_ne_u32_e64 s4, v6, v7
	v_dual_mov_b32 v6, v15 :: v_dual_mov_b32 v7, v15
	s_and_b32 s4, s4, vcc_lo
	s_delay_alu instid0(SALU_CYCLE_1)
	s_and_saveexec_b32 s10, s4
	s_cbranch_execz .LBB32_7
; %bb.27:                               ;   in Loop: Header=BB32_8 Depth=1
	s_mov_b32 s4, exec_lo
	v_cmpx_ngt_f64_e32 v[4:5], v[28:29]
	s_xor_b32 s4, exec_lo, s4
	s_cbranch_execz .LBB32_35
; %bb.28:                               ;   in Loop: Header=BB32_8 Depth=1
	s_mov_b32 s5, exec_lo
	v_cmpx_lt_f64_e32 v[4:5], v[30:31]
	s_cbranch_execz .LBB32_34
; %bb.29:                               ;   in Loop: Header=BB32_8 Depth=1
	s_clause 0x1
	global_load_b32 v36, v[20:21], off offset:16
	global_load_b32 v46, v[20:21], off offset:32
	v_div_scale_f64 v[6:7], null, v[30:31], v[30:31], v[4:5]
	v_div_scale_f64 v[44:45], vcc_lo, v[4:5], v[30:31], v[4:5]
	s_delay_alu instid0(VALU_DEP_2) | instskip(SKIP_1) | instid1(TRANS32_DEP_1)
	v_rcp_f64_e32 v[40:41], v[6:7]
	v_nop
	v_fma_f64 v[42:43], -v[6:7], v[40:41], 1.0
	s_delay_alu instid0(VALU_DEP_1) | instskip(NEXT) | instid1(VALU_DEP_1)
	v_fmac_f64_e32 v[40:41], v[40:41], v[42:43]
	v_fma_f64 v[42:43], -v[6:7], v[40:41], 1.0
	s_delay_alu instid0(VALU_DEP_1) | instskip(NEXT) | instid1(VALU_DEP_1)
	v_fmac_f64_e32 v[40:41], v[40:41], v[42:43]
	v_mul_f64_e32 v[42:43], v[44:45], v[40:41]
	s_delay_alu instid0(VALU_DEP_1) | instskip(NEXT) | instid1(VALU_DEP_1)
	v_fma_f64 v[6:7], -v[6:7], v[42:43], v[44:45]
	v_div_fmas_f64 v[6:7], v[6:7], v[40:41], v[42:43]
	s_delay_alu instid0(VALU_DEP_1)
	v_div_fixup_f64 v[4:5], v[6:7], v[30:31], v[4:5]
	s_wait_loadcnt 0x1
	ds_load_b32 v36, v36
	s_wait_loadcnt 0x0
	ds_load_b32 v6, v46
	s_and_saveexec_b32 s11, s2
	s_cbranch_execz .LBB32_31
; %bb.30:                               ;   in Loop: Header=BB32_8 Depth=1
	s_wait_dscnt 0x0
	v_ashrrev_i32_e32 v7, 31, v6
	s_delay_alu instid0(VALU_DEP_1)
	v_lshl_add_u64 v[40:41], v[6:7], 3, v[18:19]
	flat_load_b64 v[42:43], v[40:41]
	s_wait_loadcnt_dscnt 0x0
	v_mul_f64_e32 v[42:43], v[4:5], v[42:43]
	flat_store_b64 v[40:41], v[42:43]
.LBB32_31:                              ;   in Loop: Header=BB32_8 Depth=1
	s_wait_xcnt 0x0
	s_or_b32 exec_lo, exec_lo, s11
	s_wait_dscnt 0x1
	v_add_nc_u32_e32 v40, v36, v0
	s_wait_dscnt 0x0
	s_delay_alu instid0(VALU_DEP_1)
	v_cmp_lt_i32_e32 vcc_lo, v40, v6
	s_and_b32 exec_lo, exec_lo, vcc_lo
	s_cbranch_execz .LBB32_34
; %bb.32:                               ;   in Loop: Header=BB32_8 Depth=1
	v_ashrrev_i32_e32 v41, 31, v40
	s_mov_b32 s11, 0
	s_delay_alu instid0(VALU_DEP_1)
	v_lshlrev_b64_e32 v[42:43], 3, v[40:41]
.LBB32_33:                              ;   Parent Loop BB32_8 Depth=1
                                        ; =>  This Inner Loop Header: Depth=2
	s_delay_alu instid0(VALU_DEP_1) | instskip(SKIP_3) | instid1(VALU_DEP_2)
	v_add_nc_u64_e32 v[44:45], v[18:19], v[42:43]
	v_add_nc_u64_e32 v[56:57], v[26:27], v[42:43]
	v_add_nc_u32_e32 v40, v40, v24
	v_add_nc_u64_e32 v[42:43], v[42:43], v[64:65]
	v_cmp_ge_i32_e32 vcc_lo, v40, v6
	flat_load_b64 v[46:47], v[44:45]
	s_or_b32 s11, vcc_lo, s11
	s_wait_loadcnt_dscnt 0x0
	v_mul_f64_e32 v[46:47], v[4:5], v[46:47]
	flat_store_b64 v[44:45], v[46:47]
	flat_load_b64 v[44:45], v[56:57]
	s_wait_loadcnt_dscnt 0x0
	v_mul_f64_e32 v[44:45], v[4:5], v[44:45]
	flat_store_b64 v[56:57], v[44:45]
	s_wait_xcnt 0x0
	s_and_not1_b32 exec_lo, exec_lo, s11
	s_cbranch_execnz .LBB32_33
.LBB32_34:                              ;   in Loop: Header=BB32_8 Depth=1
	s_or_b32 exec_lo, exec_lo, s5
                                        ; implicit-def: $vgpr4_vgpr5
.LBB32_35:                              ;   in Loop: Header=BB32_8 Depth=1
	s_and_not1_saveexec_b32 s4, s4
	s_cbranch_execz .LBB32_42
; %bb.36:                               ;   in Loop: Header=BB32_8 Depth=1
	s_clause 0x1
	global_load_b32 v36, v[20:21], off offset:16
	global_load_b32 v46, v[20:21], off offset:32
	v_div_scale_f64 v[6:7], null, v[28:29], v[28:29], v[4:5]
	v_div_scale_f64 v[44:45], vcc_lo, v[4:5], v[28:29], v[4:5]
	s_delay_alu instid0(VALU_DEP_2) | instskip(SKIP_1) | instid1(TRANS32_DEP_1)
	v_rcp_f64_e32 v[40:41], v[6:7]
	v_nop
	v_fma_f64 v[42:43], -v[6:7], v[40:41], 1.0
	s_delay_alu instid0(VALU_DEP_1) | instskip(NEXT) | instid1(VALU_DEP_1)
	v_fmac_f64_e32 v[40:41], v[40:41], v[42:43]
	v_fma_f64 v[42:43], -v[6:7], v[40:41], 1.0
	s_delay_alu instid0(VALU_DEP_1) | instskip(NEXT) | instid1(VALU_DEP_1)
	v_fmac_f64_e32 v[40:41], v[40:41], v[42:43]
	v_mul_f64_e32 v[42:43], v[44:45], v[40:41]
	s_delay_alu instid0(VALU_DEP_1) | instskip(NEXT) | instid1(VALU_DEP_1)
	v_fma_f64 v[6:7], -v[6:7], v[42:43], v[44:45]
	v_div_fmas_f64 v[6:7], v[6:7], v[40:41], v[42:43]
	s_delay_alu instid0(VALU_DEP_1)
	v_div_fixup_f64 v[4:5], v[6:7], v[28:29], v[4:5]
	s_wait_loadcnt 0x1
	ds_load_b32 v36, v36
	s_wait_loadcnt 0x0
	ds_load_b32 v6, v46
	s_wait_xcnt 0x0
	s_and_saveexec_b32 s5, s2
	s_cbranch_execz .LBB32_38
; %bb.37:                               ;   in Loop: Header=BB32_8 Depth=1
	s_wait_dscnt 0x0
	v_ashrrev_i32_e32 v7, 31, v6
	s_delay_alu instid0(VALU_DEP_1)
	v_lshl_add_u64 v[40:41], v[6:7], 3, v[18:19]
	flat_load_b64 v[42:43], v[40:41]
	s_wait_loadcnt_dscnt 0x0
	v_mul_f64_e32 v[42:43], v[4:5], v[42:43]
	flat_store_b64 v[40:41], v[42:43]
.LBB32_38:                              ;   in Loop: Header=BB32_8 Depth=1
	s_wait_xcnt 0x0
	s_or_b32 exec_lo, exec_lo, s5
	s_wait_dscnt 0x1
	v_add_nc_u32_e32 v40, v36, v0
	s_mov_b32 s5, exec_lo
	s_wait_dscnt 0x0
	s_delay_alu instid0(VALU_DEP_1)
	v_cmpx_lt_i32_e64 v40, v6
	s_cbranch_execz .LBB32_41
; %bb.39:                               ;   in Loop: Header=BB32_8 Depth=1
	v_ashrrev_i32_e32 v41, 31, v40
	s_mov_b32 s11, 0
	s_delay_alu instid0(VALU_DEP_1)
	v_lshlrev_b64_e32 v[42:43], 3, v[40:41]
.LBB32_40:                              ;   Parent Loop BB32_8 Depth=1
                                        ; =>  This Inner Loop Header: Depth=2
	s_delay_alu instid0(VALU_DEP_1) | instskip(SKIP_3) | instid1(VALU_DEP_2)
	v_add_nc_u64_e32 v[44:45], v[18:19], v[42:43]
	v_add_nc_u64_e32 v[56:57], v[26:27], v[42:43]
	v_add_nc_u32_e32 v40, v40, v24
	v_add_nc_u64_e32 v[42:43], v[42:43], v[64:65]
	v_cmp_ge_i32_e32 vcc_lo, v40, v6
	flat_load_b64 v[46:47], v[44:45]
	s_or_b32 s11, vcc_lo, s11
	s_wait_loadcnt_dscnt 0x0
	v_mul_f64_e32 v[46:47], v[4:5], v[46:47]
	flat_store_b64 v[44:45], v[46:47]
	flat_load_b64 v[44:45], v[56:57]
	s_wait_loadcnt_dscnt 0x0
	v_mul_f64_e32 v[44:45], v[4:5], v[44:45]
	flat_store_b64 v[56:57], v[44:45]
	s_wait_xcnt 0x0
	s_and_not1_b32 exec_lo, exec_lo, s11
	s_cbranch_execnz .LBB32_40
.LBB32_41:                              ;   in Loop: Header=BB32_8 Depth=1
	s_or_b32 exec_lo, exec_lo, s5
.LBB32_42:                              ;   in Loop: Header=BB32_8 Depth=1
	s_delay_alu instid0(SALU_CYCLE_1)
	s_or_b32 exec_lo, exec_lo, s4
	s_wait_storecnt_dscnt 0x0
	s_barrier_signal -1
	s_barrier_wait -1
	ds_load_b32 v42, v118
	ds_load_b32 v40, v35
	;; [unrolled: 1-line block ×3, first 2 shown]
	s_mov_b32 s5, exec_lo
	s_wait_dscnt 0x0
	v_cmp_lt_i32_e64 s4, v58, v14
	v_cmpx_ge_i32_e64 v42, v40
	s_xor_b32 s11, exec_lo, s5
	s_cbranch_execz .LBB32_141
; %bb.43:                               ;   in Loop: Header=BB32_8 Depth=1
	s_and_saveexec_b32 s12, s4
	s_cbranch_execz .LBB32_140
; %bb.44:                               ;   in Loop: Header=BB32_8 Depth=1
	s_mov_b32 s13, 0
	s_branch .LBB32_47
.LBB32_45:                              ;   in Loop: Header=BB32_47 Depth=2
	s_or_b32 exec_lo, exec_lo, s15
	s_wait_storecnt_dscnt 0x0
	s_barrier_signal -1
	s_barrier_wait -1
	ds_load_b32 v40, v35
.LBB32_46:                              ;   in Loop: Header=BB32_47 Depth=2
	s_or_b32 exec_lo, exec_lo, s14
	ds_load_b32 v42, v118
	ds_load_b32 v58, v91
	s_wait_dscnt 0x1
	v_cmp_gt_i32_e32 vcc_lo, v40, v42
	s_wait_dscnt 0x0
	v_cmp_ge_i32_e64 s5, v58, v14
	s_or_b32 s5, vcc_lo, s5
	s_delay_alu instid0(SALU_CYCLE_1) | instskip(NEXT) | instid1(SALU_CYCLE_1)
	s_and_b32 s5, exec_lo, s5
	s_or_b32 s13, s5, s13
	s_delay_alu instid0(SALU_CYCLE_1)
	s_and_not1_b32 exec_lo, exec_lo, s13
	s_cbranch_execz .LBB32_139
.LBB32_47:                              ;   Parent Loop BB32_8 Depth=1
                                        ; =>  This Loop Header: Depth=2
                                        ;       Child Loop BB32_84 Depth 3
                                        ;       Child Loop BB32_69 Depth 3
	;; [unrolled: 1-line block ×3, first 2 shown]
                                        ;         Child Loop BB32_128 Depth 4
                                        ; implicit-def: $vgpr36
	s_and_saveexec_b32 s5, s0
	s_delay_alu instid0(SALU_CYCLE_1)
	s_xor_b32 s5, exec_lo, s5
	s_cbranch_execz .LBB32_49
; %bb.48:                               ;   in Loop: Header=BB32_47 Depth=2
	global_load_b32 v36, v[20:21], off offset:4
                                        ; implicit-def: $vgpr40
                                        ; implicit-def: $vgpr42
                                        ; implicit-def: $vgpr58
.LBB32_49:                              ;   in Loop: Header=BB32_47 Depth=2
	s_wait_xcnt 0x0
	s_and_not1_saveexec_b32 s14, s5
	s_cbranch_execz .LBB32_122
; %bb.50:                               ;   in Loop: Header=BB32_47 Depth=2
	v_ashrrev_i32_e32 v41, 31, v40
	s_mov_b32 s17, 0
	s_mov_b32 s5, 0
	s_mov_b32 s15, exec_lo
                                        ; implicit-def: $vgpr46_vgpr47
	v_cmpx_ge_i32_e64 v40, v42
	s_xor_b32 s15, exec_lo, s15
	s_cbranch_execnz .LBB32_81
; %bb.51:                               ;   in Loop: Header=BB32_47 Depth=2
	s_or_saveexec_b32 s15, s15
	v_mov_b32_e32 v4, v40
	s_xor_b32 exec_lo, exec_lo, s15
	s_cbranch_execnz .LBB32_82
.LBB32_52:                              ;   in Loop: Header=BB32_47 Depth=2
	s_or_b32 exec_lo, exec_lo, s15
                                        ; implicit-def: $vgpr36
	s_and_saveexec_b32 s15, s5
	s_cbranch_execnz .LBB32_87
.LBB32_53:                              ;   in Loop: Header=BB32_47 Depth=2
	s_or_b32 exec_lo, exec_lo, s15
	s_and_saveexec_b32 s5, s17
	s_cbranch_execz .LBB32_55
.LBB32_54:                              ;   in Loop: Header=BB32_47 Depth=2
	s_wait_loadcnt 0x0
	s_clause 0x1
	global_load_b32 v36, v[20:21], off offset:4
	global_load_b32 v5, v[20:21], off offset:16
	v_mov_b64_e32 v[46:47], v[102:103]
	v_mov_b32_e32 v4, v93
	s_wait_loadcnt 0x1
	ds_store_b32 v36, v93
	s_wait_loadcnt 0x0
	ds_store_b32 v5, v40
	flat_store_b64 v[116:117], v[86:87]
.LBB32_55:                              ;   in Loop: Header=BB32_47 Depth=2
	s_wait_xcnt 0x0
	s_or_b32 exec_lo, exec_lo, s5
	v_lshl_add_u64 v[42:43], v[46:47], 3, v[18:19]
	v_add_nc_u32_e32 v5, 1, v40
	s_mov_b32 s5, exec_lo
	flat_load_b64 v[6:7], v[42:43]
	global_load_b32 v41, v[20:21], off offset:8
	s_wait_loadcnt_dscnt 0x0
	ds_store_b64 v41, v[6:7]
	s_wait_xcnt 0x0
	v_cmpx_ne_u32_e64 v4, v40
	s_xor_b32 s15, exec_lo, s5
	s_cbranch_execz .LBB32_119
; %bb.56:                               ;   in Loop: Header=BB32_47 Depth=2
	v_lshl_add_u64 v[44:45], v[46:47], 3, v[26:27]
	s_mov_b32 s5, exec_lo
	v_cmpx_ne_u32_e64 v4, v5
	s_xor_b32 s5, exec_lo, s5
	s_cbranch_execz .LBB32_91
; %bb.57:                               ;   in Loop: Header=BB32_47 Depth=2
	flat_load_b64 v[46:47], v[42:43] offset:8
	flat_load_b64 v[60:61], v[44:45]
	v_ashrrev_i32_e32 v5, 31, v4
	s_mov_b32 s16, exec_lo
	v_add_nc_u32_e32 v58, 1, v58
	s_wait_loadcnt_dscnt 0x101
	v_add_f64_e64 v[46:47], v[46:47], -v[6:7]
	s_wait_loadcnt_dscnt 0x0
	v_add_f64_e32 v[72:73], v[60:61], v[60:61]
	v_lshl_add_u64 v[56:57], v[4:5], 3, v[18:19]
	flat_load_b64 v[62:63], v[56:57]
	ds_store_b32 v91, v58
	ds_store_b64 v41, v[86:87]
	v_div_scale_f64 v[74:75], null, v[72:73], v[72:73], v[46:47]
	v_div_scale_f64 v[88:89], vcc_lo, v[46:47], v[72:73], v[46:47]
	s_delay_alu instid0(VALU_DEP_2) | instskip(SKIP_1) | instid1(TRANS32_DEP_1)
	v_rcp_f64_e32 v[76:77], v[74:75]
	v_nop
	v_fma_f64 v[78:79], -v[74:75], v[76:77], 1.0
	s_delay_alu instid0(VALU_DEP_1) | instskip(NEXT) | instid1(VALU_DEP_1)
	v_fmac_f64_e32 v[76:77], v[76:77], v[78:79]
	v_fma_f64 v[78:79], -v[74:75], v[76:77], 1.0
	s_delay_alu instid0(VALU_DEP_1) | instskip(NEXT) | instid1(VALU_DEP_1)
	v_fmac_f64_e32 v[76:77], v[76:77], v[78:79]
	v_mul_f64_e32 v[78:79], v[88:89], v[76:77]
	s_delay_alu instid0(VALU_DEP_1) | instskip(NEXT) | instid1(VALU_DEP_1)
	v_fma_f64 v[74:75], -v[74:75], v[78:79], v[88:89]
	v_div_fmas_f64 v[74:75], v[74:75], v[76:77], v[78:79]
	s_wait_loadcnt_dscnt 0x2
	v_add_f64_e64 v[6:7], v[62:63], -v[6:7]
	s_delay_alu instid0(VALU_DEP_2) | instskip(NEXT) | instid1(VALU_DEP_1)
	v_div_fixup_f64 v[46:47], v[74:75], v[72:73], v[46:47]
	v_fma_f64 v[72:73], v[46:47], v[46:47], 1.0
	s_delay_alu instid0(VALU_DEP_1) | instskip(SKIP_1) | instid1(VALU_DEP_1)
	v_cmp_gt_f64_e32 vcc_lo, 0x10000000, v[72:73]
	v_cndmask_b32_e64 v59, 0, 0x100, vcc_lo
	v_ldexp_f64 v[72:73], v[72:73], v59
	v_cndmask_b32_e64 v59, 0, 0xffffff80, vcc_lo
	s_delay_alu instid0(VALU_DEP_2) | instskip(SKIP_1) | instid1(TRANS32_DEP_1)
	v_rsq_f64_e32 v[74:75], v[72:73]
	v_cmp_class_f64_e64 vcc_lo, v[72:73], 0x260
	v_mul_f64_e32 v[76:77], v[72:73], v[74:75]
	v_mul_f64_e32 v[74:75], 0.5, v[74:75]
	s_delay_alu instid0(VALU_DEP_1) | instskip(NEXT) | instid1(VALU_DEP_1)
	v_fma_f64 v[78:79], -v[74:75], v[76:77], 0.5
	v_fmac_f64_e32 v[76:77], v[76:77], v[78:79]
	v_fmac_f64_e32 v[74:75], v[74:75], v[78:79]
	s_delay_alu instid0(VALU_DEP_2) | instskip(NEXT) | instid1(VALU_DEP_1)
	v_fma_f64 v[78:79], -v[76:77], v[76:77], v[72:73]
	v_fmac_f64_e32 v[76:77], v[78:79], v[74:75]
	s_delay_alu instid0(VALU_DEP_1) | instskip(NEXT) | instid1(VALU_DEP_1)
	v_fma_f64 v[78:79], -v[76:77], v[76:77], v[72:73]
	v_fmac_f64_e32 v[76:77], v[78:79], v[74:75]
	s_delay_alu instid0(VALU_DEP_1) | instskip(NEXT) | instid1(VALU_DEP_1)
	v_ldexp_f64 v[74:75], v[76:77], v59
	v_cndmask_b32_e32 v59, v75, v73, vcc_lo
	s_delay_alu instid0(VALU_DEP_1) | instskip(SKIP_1) | instid1(VALU_DEP_4)
	v_and_b32_e32 v73, 0x7fffffff, v59
	v_or_b32_e32 v59, 0x80000000, v59
	v_cndmask_b32_e32 v72, v74, v72, vcc_lo
	v_cmp_nle_f64_e32 vcc_lo, 0, v[46:47]
	s_delay_alu instid0(VALU_DEP_3) | instskip(NEXT) | instid1(VALU_DEP_1)
	v_cndmask_b32_e32 v73, v73, v59, vcc_lo
	v_add_f64_e32 v[46:47], v[46:47], v[72:73]
	s_delay_alu instid0(VALU_DEP_1) | instskip(NEXT) | instid1(VALU_DEP_1)
	v_div_scale_f64 v[72:73], null, v[46:47], v[46:47], v[60:61]
	v_rcp_f64_e32 v[74:75], v[72:73]
	v_nop
	s_delay_alu instid0(TRANS32_DEP_1) | instskip(NEXT) | instid1(VALU_DEP_1)
	v_fma_f64 v[76:77], -v[72:73], v[74:75], 1.0
	v_fmac_f64_e32 v[74:75], v[74:75], v[76:77]
	s_delay_alu instid0(VALU_DEP_1) | instskip(NEXT) | instid1(VALU_DEP_1)
	v_fma_f64 v[76:77], -v[72:73], v[74:75], 1.0
	v_fmac_f64_e32 v[74:75], v[74:75], v[76:77]
	v_div_scale_f64 v[76:77], vcc_lo, v[60:61], v[46:47], v[60:61]
	s_delay_alu instid0(VALU_DEP_1) | instskip(NEXT) | instid1(VALU_DEP_1)
	v_mul_f64_e32 v[78:79], v[76:77], v[74:75]
	v_fma_f64 v[72:73], -v[72:73], v[78:79], v[76:77]
	s_delay_alu instid0(VALU_DEP_1) | instskip(NEXT) | instid1(VALU_DEP_1)
	v_div_fmas_f64 v[72:73], v[72:73], v[74:75], v[78:79]
	v_div_fixup_f64 v[46:47], v[72:73], v[46:47], v[60:61]
	s_delay_alu instid0(VALU_DEP_1)
	v_add_f64_e32 v[6:7], v[6:7], v[46:47]
	v_mov_b64_e32 v[46:47], 0
	s_wait_xcnt 0x0
	v_cmpx_gt_i32_e64 v4, v40
	s_cbranch_execz .LBB32_90
; %bb.58:                               ;   in Loop: Header=BB32_47 Depth=2
	v_lshl_add_u64 v[46:47], v[4:5], 3, v[26:27]
	v_mov_b64_e32 v[74:75], 0
	s_mov_b32 s17, exec_lo
	flat_load_b64 v[58:59], v[46:47] offset:-8
	s_wait_xcnt 0x0
	v_mov_b64_e32 v[46:47], 1.0
	s_wait_loadcnt_dscnt 0x0
	v_cmpx_neq_f64_e32 0, v[58:59]
	s_cbranch_execz .LBB32_66
; %bb.59:                               ;   in Loop: Header=BB32_47 Depth=2
	v_mov_b64_e32 v[46:47], 0
	v_mov_b64_e32 v[74:75], 1.0
	s_mov_b32 s18, exec_lo
	v_cmpx_neq_f64_e32 0, v[6:7]
	s_cbranch_execz .LBB32_65
; %bb.60:                               ;   in Loop: Header=BB32_47 Depth=2
	v_cmp_ngt_f64_e64 s19, |v[58:59]|, |v[6:7]|
                                        ; implicit-def: $vgpr74_vgpr75
                                        ; implicit-def: $vgpr46_vgpr47
	s_and_saveexec_b32 s20, s19
	s_delay_alu instid0(SALU_CYCLE_1)
	s_xor_b32 s19, exec_lo, s20
	s_cbranch_execz .LBB32_62
; %bb.61:                               ;   in Loop: Header=BB32_47 Depth=2
	v_div_scale_f64 v[46:47], null, v[6:7], v[6:7], -v[58:59]
	v_div_scale_f64 v[72:73], vcc_lo, -v[58:59], v[6:7], -v[58:59]
	s_delay_alu instid0(VALU_DEP_2) | instskip(SKIP_1) | instid1(TRANS32_DEP_1)
	v_rcp_f64_e32 v[60:61], v[46:47]
	v_nop
	v_fma_f64 v[62:63], -v[46:47], v[60:61], 1.0
	s_delay_alu instid0(VALU_DEP_1) | instskip(NEXT) | instid1(VALU_DEP_1)
	v_fmac_f64_e32 v[60:61], v[60:61], v[62:63]
	v_fma_f64 v[62:63], -v[46:47], v[60:61], 1.0
	s_delay_alu instid0(VALU_DEP_1) | instskip(NEXT) | instid1(VALU_DEP_1)
	v_fmac_f64_e32 v[60:61], v[60:61], v[62:63]
	v_mul_f64_e32 v[62:63], v[72:73], v[60:61]
	s_delay_alu instid0(VALU_DEP_1) | instskip(NEXT) | instid1(VALU_DEP_1)
	v_fma_f64 v[46:47], -v[46:47], v[62:63], v[72:73]
	v_div_fmas_f64 v[46:47], v[46:47], v[60:61], v[62:63]
	s_delay_alu instid0(VALU_DEP_1) | instskip(NEXT) | instid1(VALU_DEP_1)
	v_div_fixup_f64 v[6:7], v[46:47], v[6:7], -v[58:59]
	v_fma_f64 v[46:47], v[6:7], v[6:7], 1.0
	s_delay_alu instid0(VALU_DEP_1) | instskip(SKIP_1) | instid1(VALU_DEP_1)
	v_cmp_gt_f64_e32 vcc_lo, 0x10000000, v[46:47]
	v_cndmask_b32_e64 v60, 0, 0x100, vcc_lo
	v_ldexp_f64 v[46:47], v[46:47], v60
	s_delay_alu instid0(VALU_DEP_1) | instskip(SKIP_1) | instid1(TRANS32_DEP_1)
	v_rsq_f64_e32 v[60:61], v[46:47]
	v_nop
	v_mul_f64_e32 v[62:63], v[46:47], v[60:61]
	v_mul_f64_e32 v[60:61], 0.5, v[60:61]
	s_delay_alu instid0(VALU_DEP_1) | instskip(NEXT) | instid1(VALU_DEP_1)
	v_fma_f64 v[72:73], -v[60:61], v[62:63], 0.5
	v_fmac_f64_e32 v[62:63], v[62:63], v[72:73]
	v_fmac_f64_e32 v[60:61], v[60:61], v[72:73]
	s_delay_alu instid0(VALU_DEP_2) | instskip(NEXT) | instid1(VALU_DEP_1)
	v_fma_f64 v[72:73], -v[62:63], v[62:63], v[46:47]
	v_fmac_f64_e32 v[62:63], v[72:73], v[60:61]
	s_delay_alu instid0(VALU_DEP_1) | instskip(NEXT) | instid1(VALU_DEP_1)
	v_fma_f64 v[72:73], -v[62:63], v[62:63], v[46:47]
	v_fmac_f64_e32 v[62:63], v[72:73], v[60:61]
	v_cndmask_b32_e64 v60, 0, 0xffffff80, vcc_lo
	v_cmp_class_f64_e64 vcc_lo, v[46:47], 0x260
	s_delay_alu instid0(VALU_DEP_2) | instskip(NEXT) | instid1(VALU_DEP_1)
	v_ldexp_f64 v[60:61], v[62:63], v60
	v_dual_cndmask_b32 v47, v61, v47 :: v_dual_cndmask_b32 v46, v60, v46
	s_delay_alu instid0(VALU_DEP_1) | instskip(NEXT) | instid1(VALU_DEP_1)
	v_div_scale_f64 v[60:61], null, v[46:47], v[46:47], 1.0
	v_rcp_f64_e32 v[62:63], v[60:61]
	v_nop
	s_delay_alu instid0(TRANS32_DEP_1) | instskip(NEXT) | instid1(VALU_DEP_1)
	v_fma_f64 v[72:73], -v[60:61], v[62:63], 1.0
	v_fmac_f64_e32 v[62:63], v[62:63], v[72:73]
	s_delay_alu instid0(VALU_DEP_1) | instskip(NEXT) | instid1(VALU_DEP_1)
	v_fma_f64 v[72:73], -v[60:61], v[62:63], 1.0
	v_fmac_f64_e32 v[62:63], v[62:63], v[72:73]
	v_div_scale_f64 v[72:73], vcc_lo, 1.0, v[46:47], 1.0
	s_delay_alu instid0(VALU_DEP_1) | instskip(NEXT) | instid1(VALU_DEP_1)
	v_mul_f64_e32 v[74:75], v[72:73], v[62:63]
	v_fma_f64 v[60:61], -v[60:61], v[74:75], v[72:73]
	s_delay_alu instid0(VALU_DEP_1) | instskip(NEXT) | instid1(VALU_DEP_1)
	v_div_fmas_f64 v[60:61], v[60:61], v[62:63], v[74:75]
	v_div_fixup_f64 v[46:47], v[60:61], v[46:47], 1.0
	s_delay_alu instid0(VALU_DEP_1)
	v_mul_f64_e32 v[74:75], v[6:7], v[46:47]
                                        ; implicit-def: $vgpr6_vgpr7
.LBB32_62:                              ;   in Loop: Header=BB32_47 Depth=2
	s_and_not1_saveexec_b32 s19, s19
	s_cbranch_execz .LBB32_64
; %bb.63:                               ;   in Loop: Header=BB32_47 Depth=2
	v_div_scale_f64 v[46:47], null, v[58:59], v[58:59], -v[6:7]
	v_div_scale_f64 v[72:73], vcc_lo, -v[6:7], v[58:59], -v[6:7]
	s_delay_alu instid0(VALU_DEP_2) | instskip(SKIP_1) | instid1(TRANS32_DEP_1)
	v_rcp_f64_e32 v[60:61], v[46:47]
	v_nop
	v_fma_f64 v[62:63], -v[46:47], v[60:61], 1.0
	s_delay_alu instid0(VALU_DEP_1) | instskip(NEXT) | instid1(VALU_DEP_1)
	v_fmac_f64_e32 v[60:61], v[60:61], v[62:63]
	v_fma_f64 v[62:63], -v[46:47], v[60:61], 1.0
	s_delay_alu instid0(VALU_DEP_1) | instskip(NEXT) | instid1(VALU_DEP_1)
	v_fmac_f64_e32 v[60:61], v[60:61], v[62:63]
	v_mul_f64_e32 v[62:63], v[72:73], v[60:61]
	s_delay_alu instid0(VALU_DEP_1) | instskip(NEXT) | instid1(VALU_DEP_1)
	v_fma_f64 v[46:47], -v[46:47], v[62:63], v[72:73]
	v_div_fmas_f64 v[46:47], v[46:47], v[60:61], v[62:63]
	s_delay_alu instid0(VALU_DEP_1) | instskip(NEXT) | instid1(VALU_DEP_1)
	v_div_fixup_f64 v[6:7], v[46:47], v[58:59], -v[6:7]
	v_fma_f64 v[46:47], v[6:7], v[6:7], 1.0
	s_delay_alu instid0(VALU_DEP_1) | instskip(SKIP_1) | instid1(VALU_DEP_1)
	v_cmp_gt_f64_e32 vcc_lo, 0x10000000, v[46:47]
	v_cndmask_b32_e64 v60, 0, 0x100, vcc_lo
	v_ldexp_f64 v[46:47], v[46:47], v60
	s_delay_alu instid0(VALU_DEP_1) | instskip(SKIP_1) | instid1(TRANS32_DEP_1)
	v_rsq_f64_e32 v[60:61], v[46:47]
	v_nop
	v_mul_f64_e32 v[62:63], v[46:47], v[60:61]
	v_mul_f64_e32 v[60:61], 0.5, v[60:61]
	s_delay_alu instid0(VALU_DEP_1) | instskip(NEXT) | instid1(VALU_DEP_1)
	v_fma_f64 v[72:73], -v[60:61], v[62:63], 0.5
	v_fmac_f64_e32 v[62:63], v[62:63], v[72:73]
	v_fmac_f64_e32 v[60:61], v[60:61], v[72:73]
	s_delay_alu instid0(VALU_DEP_2) | instskip(NEXT) | instid1(VALU_DEP_1)
	v_fma_f64 v[72:73], -v[62:63], v[62:63], v[46:47]
	v_fmac_f64_e32 v[62:63], v[72:73], v[60:61]
	s_delay_alu instid0(VALU_DEP_1) | instskip(NEXT) | instid1(VALU_DEP_1)
	v_fma_f64 v[72:73], -v[62:63], v[62:63], v[46:47]
	v_fmac_f64_e32 v[62:63], v[72:73], v[60:61]
	v_cndmask_b32_e64 v60, 0, 0xffffff80, vcc_lo
	v_cmp_class_f64_e64 vcc_lo, v[46:47], 0x260
	s_delay_alu instid0(VALU_DEP_2) | instskip(NEXT) | instid1(VALU_DEP_1)
	v_ldexp_f64 v[60:61], v[62:63], v60
	v_dual_cndmask_b32 v47, v61, v47 :: v_dual_cndmask_b32 v46, v60, v46
	s_delay_alu instid0(VALU_DEP_1) | instskip(NEXT) | instid1(VALU_DEP_1)
	v_div_scale_f64 v[60:61], null, v[46:47], v[46:47], 1.0
	v_rcp_f64_e32 v[62:63], v[60:61]
	v_nop
	s_delay_alu instid0(TRANS32_DEP_1) | instskip(NEXT) | instid1(VALU_DEP_1)
	v_fma_f64 v[72:73], -v[60:61], v[62:63], 1.0
	v_fmac_f64_e32 v[62:63], v[62:63], v[72:73]
	s_delay_alu instid0(VALU_DEP_1) | instskip(NEXT) | instid1(VALU_DEP_1)
	v_fma_f64 v[72:73], -v[60:61], v[62:63], 1.0
	v_fmac_f64_e32 v[62:63], v[62:63], v[72:73]
	v_div_scale_f64 v[72:73], vcc_lo, 1.0, v[46:47], 1.0
	s_delay_alu instid0(VALU_DEP_1) | instskip(NEXT) | instid1(VALU_DEP_1)
	v_mul_f64_e32 v[74:75], v[72:73], v[62:63]
	v_fma_f64 v[60:61], -v[60:61], v[74:75], v[72:73]
	s_delay_alu instid0(VALU_DEP_1) | instskip(NEXT) | instid1(VALU_DEP_1)
	v_div_fmas_f64 v[60:61], v[60:61], v[62:63], v[74:75]
	v_div_fixup_f64 v[74:75], v[60:61], v[46:47], 1.0
	s_delay_alu instid0(VALU_DEP_1)
	v_mul_f64_e32 v[46:47], v[6:7], v[74:75]
.LBB32_64:                              ;   in Loop: Header=BB32_47 Depth=2
	s_or_b32 exec_lo, exec_lo, s19
.LBB32_65:                              ;   in Loop: Header=BB32_47 Depth=2
	s_delay_alu instid0(SALU_CYCLE_1)
	s_or_b32 exec_lo, exec_lo, s18
.LBB32_66:                              ;   in Loop: Header=BB32_47 Depth=2
	s_delay_alu instid0(SALU_CYCLE_1)
	s_or_b32 exec_lo, exec_lo, s17
	flat_load_b128 v[60:63], v[56:57] offset:-8
	v_lshl_add_u64 v[72:73], v[4:5], 3, v[12:13]
	s_mov_b32 s17, exec_lo
	s_wait_loadcnt_dscnt 0x0
	v_add_f64_e64 v[6:7], v[60:61], -v[62:63]
	v_add_f64_e32 v[60:61], v[46:47], v[46:47]
	s_delay_alu instid0(VALU_DEP_2) | instskip(NEXT) | instid1(VALU_DEP_1)
	v_mul_f64_e32 v[6:7], v[74:75], v[6:7]
	v_fma_f64 v[6:7], v[58:59], v[60:61], -v[6:7]
	s_delay_alu instid0(VALU_DEP_1) | instskip(SKIP_2) | instid1(VALU_DEP_1)
	v_mul_f64_e64 v[60:61], v[6:7], -v[74:75]
	v_fma_f64 v[62:63], v[6:7], -v[74:75], v[62:63]
	v_dual_fma_f64 v[6:7], v[46:47], v[6:7], -v[58:59] :: v_dual_add_nc_u32 v58, -1, v4
	v_ashrrev_i32_e32 v59, 31, v58
	s_delay_alu instid0(VALU_DEP_1)
	v_lshl_add_u64 v[76:77], v[58:59], 3, v[48:49]
	ds_store_b64 v41, v[60:61]
	flat_store_b64 v[56:57], v[62:63]
	s_clause 0x1
	flat_store_b64 v[72:73], v[46:47] offset:-8
	flat_store_b64 v[76:77], v[74:75] offset:-8
	s_wait_xcnt 0x0
	v_cmpx_gt_i32_e64 v58, v40
	s_cbranch_execz .LBB32_89
; %bb.67:                               ;   in Loop: Header=BB32_47 Depth=2
	v_add_nc_u32_e32 v62, -2, v4
	v_lshlrev_b64_e32 v[60:61], 3, v[58:59]
	v_xor_b32_e32 v75, 0x80000000, v75
	s_mov_b32 s19, -1
	s_mov_b32 s18, 0
	v_ashrrev_i32_e32 v63, 31, v62
	s_delay_alu instid0(VALU_DEP_3) | instskip(SKIP_2) | instid1(VALU_DEP_4)
	v_add_nc_u64_e32 v[56:57], v[66:67], v[60:61]
	v_add_nc_u64_e32 v[58:59], v[68:69], v[60:61]
	;; [unrolled: 1-line block ×3, first 2 shown]
	v_lshl_add_u64 v[62:63], v[62:63], 3, v[80:81]
	s_branch .LBB32_69
.LBB32_68:                              ;   in Loop: Header=BB32_69 Depth=3
	flat_load_b128 v[104:107], v[58:59]
	s_wait_xcnt 0x1
	ds_load_b64 v[6:7], v41
	s_add_co_i32 s19, s19, -1
	v_mul_f64_e32 v[46:47], v[46:47], v[72:73]
	v_add_f64_e32 v[72:73], v[76:77], v[76:77]
	v_add_nc_u64_e32 v[60:61], -8, v[60:61]
	v_add_nc_u32_e32 v5, s19, v4
	s_delay_alu instid0(VALU_DEP_1) | instskip(SKIP_3) | instid1(VALU_DEP_1)
	v_cmp_le_i32_e32 vcc_lo, v5, v40
	s_or_b32 s18, vcc_lo, s18
	s_wait_loadcnt_dscnt 0x0
	v_add_f64_e64 v[6:7], v[106:107], -v[6:7]
	v_add_f64_e64 v[74:75], v[104:105], -v[6:7]
	s_delay_alu instid0(VALU_DEP_1) | instskip(NEXT) | instid1(VALU_DEP_1)
	v_mul_f64_e32 v[74:75], v[78:79], v[74:75]
	v_fma_f64 v[72:73], v[46:47], v[72:73], -v[74:75]
	v_xor_b32_e32 v75, 0x80000000, v79
	s_delay_alu instid0(VALU_DEP_2)
	v_dual_mul_f64 v[88:89], v[72:73], -v[78:79] :: v_dual_mov_b32 v74, v78
	v_fma_f64 v[94:95], v[72:73], -v[78:79], v[6:7]
	v_fma_f64 v[6:7], v[76:77], v[72:73], -v[46:47]
	v_mov_b64_e32 v[46:47], v[76:77]
	ds_store_b64 v41, v[88:89]
	flat_store_b64 v[58:59], v[94:95] offset:8
	flat_store_b64 v[56:57], v[76:77]
	flat_store_b64 v[62:63], v[78:79]
	s_wait_xcnt 0x1
	v_add_nc_u64_e32 v[56:57], -8, v[56:57]
	v_add_nc_u64_e32 v[58:59], -8, v[58:59]
	s_wait_xcnt 0x0
	v_add_nc_u64_e32 v[62:63], -8, v[62:63]
	s_and_not1_b32 exec_lo, exec_lo, s18
	s_cbranch_execz .LBB32_88
.LBB32_69:                              ;   Parent Loop BB32_8 Depth=1
                                        ;     Parent Loop BB32_47 Depth=2
                                        ; =>    This Inner Loop Header: Depth=3
	flat_load_b64 v[72:73], v[60:61]
	v_mov_b64_e32 v[78:79], 0
	v_mov_b64_e32 v[76:77], 1.0
	s_mov_b32 s20, exec_lo
	s_wait_loadcnt_dscnt 0x0
	v_mul_f64_e32 v[74:75], v[74:75], v[72:73]
	s_wait_xcnt 0x0
	s_delay_alu instid0(VALU_DEP_1)
	v_cmpx_neq_f64_e32 0, v[74:75]
	s_cbranch_execz .LBB32_79
; %bb.70:                               ;   in Loop: Header=BB32_69 Depth=3
	v_xor_b32_e32 v89, 0x80000000, v75
	v_mov_b32_e32 v88, v74
	s_mov_b32 s21, exec_lo
                                        ; implicit-def: $vgpr78_vgpr79
                                        ; implicit-def: $vgpr76_vgpr77
	v_cmpx_neq_f64_e32 0, v[6:7]
	s_xor_b32 s21, exec_lo, s21
	s_cbranch_execz .LBB32_76
; %bb.71:                               ;   in Loop: Header=BB32_69 Depth=3
	v_cmp_ngt_f64_e64 s22, |v[74:75]|, |v[6:7]|
                                        ; implicit-def: $vgpr78_vgpr79
                                        ; implicit-def: $vgpr76_vgpr77
	s_and_saveexec_b32 s23, s22
	s_delay_alu instid0(SALU_CYCLE_1)
	s_xor_b32 s22, exec_lo, s23
	s_cbranch_execz .LBB32_73
; %bb.72:                               ;   in Loop: Header=BB32_69 Depth=3
	v_div_scale_f64 v[76:77], null, v[6:7], v[6:7], -v[74:75]
	v_div_scale_f64 v[94:95], vcc_lo, -v[74:75], v[6:7], -v[74:75]
	s_delay_alu instid0(VALU_DEP_2) | instskip(SKIP_1) | instid1(TRANS32_DEP_1)
	v_rcp_f64_e32 v[78:79], v[76:77]
	v_nop
	v_fma_f64 v[88:89], -v[76:77], v[78:79], 1.0
	s_delay_alu instid0(VALU_DEP_1) | instskip(NEXT) | instid1(VALU_DEP_1)
	v_fmac_f64_e32 v[78:79], v[78:79], v[88:89]
	v_fma_f64 v[88:89], -v[76:77], v[78:79], 1.0
	s_delay_alu instid0(VALU_DEP_1) | instskip(NEXT) | instid1(VALU_DEP_1)
	v_fmac_f64_e32 v[78:79], v[78:79], v[88:89]
	v_mul_f64_e32 v[88:89], v[94:95], v[78:79]
	s_delay_alu instid0(VALU_DEP_1) | instskip(NEXT) | instid1(VALU_DEP_1)
	v_fma_f64 v[76:77], -v[76:77], v[88:89], v[94:95]
	v_div_fmas_f64 v[76:77], v[76:77], v[78:79], v[88:89]
	s_delay_alu instid0(VALU_DEP_1) | instskip(NEXT) | instid1(VALU_DEP_1)
	v_div_fixup_f64 v[78:79], v[76:77], v[6:7], -v[74:75]
	v_fma_f64 v[76:77], v[78:79], v[78:79], 1.0
	s_delay_alu instid0(VALU_DEP_1) | instskip(SKIP_1) | instid1(VALU_DEP_1)
	v_cmp_gt_f64_e32 vcc_lo, 0x10000000, v[76:77]
	v_cndmask_b32_e64 v5, 0, 0x100, vcc_lo
	v_ldexp_f64 v[76:77], v[76:77], v5
	v_cndmask_b32_e64 v5, 0, 0xffffff80, vcc_lo
	s_delay_alu instid0(VALU_DEP_2) | instskip(SKIP_1) | instid1(TRANS32_DEP_1)
	v_rsq_f64_e32 v[88:89], v[76:77]
	v_cmp_class_f64_e64 vcc_lo, v[76:77], 0x260
	v_mul_f64_e32 v[94:95], v[76:77], v[88:89]
	v_mul_f64_e32 v[88:89], 0.5, v[88:89]
	s_delay_alu instid0(VALU_DEP_1) | instskip(NEXT) | instid1(VALU_DEP_1)
	v_fma_f64 v[104:105], -v[88:89], v[94:95], 0.5
	v_fmac_f64_e32 v[94:95], v[94:95], v[104:105]
	v_fmac_f64_e32 v[88:89], v[88:89], v[104:105]
	s_delay_alu instid0(VALU_DEP_2) | instskip(NEXT) | instid1(VALU_DEP_1)
	v_fma_f64 v[104:105], -v[94:95], v[94:95], v[76:77]
	v_fmac_f64_e32 v[94:95], v[104:105], v[88:89]
	s_delay_alu instid0(VALU_DEP_1) | instskip(NEXT) | instid1(VALU_DEP_1)
	v_fma_f64 v[104:105], -v[94:95], v[94:95], v[76:77]
	v_fmac_f64_e32 v[94:95], v[104:105], v[88:89]
	s_delay_alu instid0(VALU_DEP_1) | instskip(NEXT) | instid1(VALU_DEP_1)
	v_ldexp_f64 v[88:89], v[94:95], v5
	v_dual_cndmask_b32 v77, v89, v77 :: v_dual_cndmask_b32 v76, v88, v76
	s_delay_alu instid0(VALU_DEP_1) | instskip(NEXT) | instid1(VALU_DEP_1)
	v_div_scale_f64 v[88:89], null, v[76:77], v[76:77], 1.0
	v_rcp_f64_e32 v[94:95], v[88:89]
	v_nop
	s_delay_alu instid0(TRANS32_DEP_1) | instskip(NEXT) | instid1(VALU_DEP_1)
	v_fma_f64 v[104:105], -v[88:89], v[94:95], 1.0
	v_fmac_f64_e32 v[94:95], v[94:95], v[104:105]
	s_delay_alu instid0(VALU_DEP_1) | instskip(NEXT) | instid1(VALU_DEP_1)
	v_fma_f64 v[104:105], -v[88:89], v[94:95], 1.0
	v_fmac_f64_e32 v[94:95], v[94:95], v[104:105]
	v_div_scale_f64 v[104:105], vcc_lo, 1.0, v[76:77], 1.0
	s_delay_alu instid0(VALU_DEP_1) | instskip(NEXT) | instid1(VALU_DEP_1)
	v_mul_f64_e32 v[106:107], v[104:105], v[94:95]
	v_fma_f64 v[88:89], -v[88:89], v[106:107], v[104:105]
	s_delay_alu instid0(VALU_DEP_1) | instskip(NEXT) | instid1(VALU_DEP_1)
	v_div_fmas_f64 v[88:89], v[88:89], v[94:95], v[106:107]
	v_div_fixup_f64 v[76:77], v[88:89], v[76:77], 1.0
	s_delay_alu instid0(VALU_DEP_1)
	v_mul_f64_e32 v[78:79], v[78:79], v[76:77]
.LBB32_73:                              ;   in Loop: Header=BB32_69 Depth=3
	s_and_not1_saveexec_b32 s22, s22
	s_cbranch_execz .LBB32_75
; %bb.74:                               ;   in Loop: Header=BB32_69 Depth=3
	v_div_scale_f64 v[76:77], null, v[74:75], v[74:75], -v[6:7]
	v_div_scale_f64 v[94:95], vcc_lo, -v[6:7], v[74:75], -v[6:7]
	s_delay_alu instid0(VALU_DEP_2) | instskip(SKIP_1) | instid1(TRANS32_DEP_1)
	v_rcp_f64_e32 v[78:79], v[76:77]
	v_nop
	v_fma_f64 v[88:89], -v[76:77], v[78:79], 1.0
	s_delay_alu instid0(VALU_DEP_1) | instskip(NEXT) | instid1(VALU_DEP_1)
	v_fmac_f64_e32 v[78:79], v[78:79], v[88:89]
	v_fma_f64 v[88:89], -v[76:77], v[78:79], 1.0
	s_delay_alu instid0(VALU_DEP_1) | instskip(NEXT) | instid1(VALU_DEP_1)
	v_fmac_f64_e32 v[78:79], v[78:79], v[88:89]
	v_mul_f64_e32 v[88:89], v[94:95], v[78:79]
	s_delay_alu instid0(VALU_DEP_1) | instskip(NEXT) | instid1(VALU_DEP_1)
	v_fma_f64 v[76:77], -v[76:77], v[88:89], v[94:95]
	v_div_fmas_f64 v[76:77], v[76:77], v[78:79], v[88:89]
	s_delay_alu instid0(VALU_DEP_1) | instskip(NEXT) | instid1(VALU_DEP_1)
	v_div_fixup_f64 v[76:77], v[76:77], v[74:75], -v[6:7]
	v_fma_f64 v[78:79], v[76:77], v[76:77], 1.0
	s_delay_alu instid0(VALU_DEP_1) | instskip(SKIP_1) | instid1(VALU_DEP_1)
	v_cmp_gt_f64_e32 vcc_lo, 0x10000000, v[78:79]
	v_cndmask_b32_e64 v5, 0, 0x100, vcc_lo
	v_ldexp_f64 v[78:79], v[78:79], v5
	v_cndmask_b32_e64 v5, 0, 0xffffff80, vcc_lo
	s_delay_alu instid0(VALU_DEP_2) | instskip(SKIP_1) | instid1(TRANS32_DEP_1)
	v_rsq_f64_e32 v[88:89], v[78:79]
	v_cmp_class_f64_e64 vcc_lo, v[78:79], 0x260
	v_mul_f64_e32 v[94:95], v[78:79], v[88:89]
	v_mul_f64_e32 v[88:89], 0.5, v[88:89]
	s_delay_alu instid0(VALU_DEP_1) | instskip(NEXT) | instid1(VALU_DEP_1)
	v_fma_f64 v[104:105], -v[88:89], v[94:95], 0.5
	v_fmac_f64_e32 v[94:95], v[94:95], v[104:105]
	v_fmac_f64_e32 v[88:89], v[88:89], v[104:105]
	s_delay_alu instid0(VALU_DEP_2) | instskip(NEXT) | instid1(VALU_DEP_1)
	v_fma_f64 v[104:105], -v[94:95], v[94:95], v[78:79]
	v_fmac_f64_e32 v[94:95], v[104:105], v[88:89]
	s_delay_alu instid0(VALU_DEP_1) | instskip(NEXT) | instid1(VALU_DEP_1)
	v_fma_f64 v[104:105], -v[94:95], v[94:95], v[78:79]
	v_fmac_f64_e32 v[94:95], v[104:105], v[88:89]
	s_delay_alu instid0(VALU_DEP_1) | instskip(NEXT) | instid1(VALU_DEP_1)
	v_ldexp_f64 v[88:89], v[94:95], v5
	v_dual_cndmask_b32 v79, v89, v79 :: v_dual_cndmask_b32 v78, v88, v78
	s_delay_alu instid0(VALU_DEP_1) | instskip(NEXT) | instid1(VALU_DEP_1)
	v_div_scale_f64 v[88:89], null, v[78:79], v[78:79], 1.0
	v_rcp_f64_e32 v[94:95], v[88:89]
	v_nop
	s_delay_alu instid0(TRANS32_DEP_1) | instskip(NEXT) | instid1(VALU_DEP_1)
	v_fma_f64 v[104:105], -v[88:89], v[94:95], 1.0
	v_fmac_f64_e32 v[94:95], v[94:95], v[104:105]
	s_delay_alu instid0(VALU_DEP_1) | instskip(NEXT) | instid1(VALU_DEP_1)
	v_fma_f64 v[104:105], -v[88:89], v[94:95], 1.0
	v_fmac_f64_e32 v[94:95], v[94:95], v[104:105]
	v_div_scale_f64 v[104:105], vcc_lo, 1.0, v[78:79], 1.0
	s_delay_alu instid0(VALU_DEP_1) | instskip(NEXT) | instid1(VALU_DEP_1)
	v_mul_f64_e32 v[106:107], v[104:105], v[94:95]
	v_fma_f64 v[88:89], -v[88:89], v[106:107], v[104:105]
	s_delay_alu instid0(VALU_DEP_1) | instskip(NEXT) | instid1(VALU_DEP_1)
	v_div_fmas_f64 v[88:89], v[88:89], v[94:95], v[106:107]
	v_div_fixup_f64 v[78:79], v[88:89], v[78:79], 1.0
	s_delay_alu instid0(VALU_DEP_1)
	v_mul_f64_e32 v[76:77], v[76:77], v[78:79]
.LBB32_75:                              ;   in Loop: Header=BB32_69 Depth=3
	s_or_b32 exec_lo, exec_lo, s22
	s_delay_alu instid0(VALU_DEP_1) | instskip(NEXT) | instid1(VALU_DEP_1)
	v_mul_f64_e32 v[74:75], v[74:75], v[78:79]
	v_fma_f64 v[88:89], v[6:7], v[76:77], -v[74:75]
.LBB32_76:                              ;   in Loop: Header=BB32_69 Depth=3
	s_and_not1_saveexec_b32 s21, s21
; %bb.77:                               ;   in Loop: Header=BB32_69 Depth=3
	v_mov_b64_e32 v[76:77], 0
	v_mov_b64_e32 v[78:79], 1.0
; %bb.78:                               ;   in Loop: Header=BB32_69 Depth=3
	s_or_b32 exec_lo, exec_lo, s21
	s_delay_alu instid0(VALU_DEP_3)
	v_mov_b64_e32 v[6:7], v[88:89]
.LBB32_79:                              ;   in Loop: Header=BB32_69 Depth=3
	s_or_b32 exec_lo, exec_lo, s20
	s_cmp_eq_u32 s19, 0
	s_cbranch_scc1 .LBB32_68
; %bb.80:                               ;   in Loop: Header=BB32_69 Depth=3
	flat_store_b64 v[60:61], v[6:7] offset:8
	s_branch .LBB32_68
.LBB32_81:                              ;   in Loop: Header=BB32_47 Depth=2
	v_mov_b64_e32 v[46:47], v[40:41]
	s_mov_b32 s5, exec_lo
                                        ; implicit-def: $vgpr42
	s_or_saveexec_b32 s15, s15
	v_mov_b32_e32 v4, v40
	s_xor_b32 exec_lo, exec_lo, s15
	s_cbranch_execz .LBB32_52
.LBB32_82:                              ;   in Loop: Header=BB32_47 Depth=2
	v_lshlrev_b64_e32 v[6:7], 3, v[40:41]
	v_mov_b64_e32 v[102:103], v[40:41]
	s_wait_loadcnt 0x0
	v_mov_b32_e32 v36, v40
                                        ; implicit-def: $sgpr16
                                        ; implicit-def: $sgpr19
                                        ; implicit-def: $sgpr18
	s_delay_alu instid0(VALU_DEP_3)
	v_add_nc_u64_e32 v[4:5], v[18:19], v[6:7]
	v_add_nc_u64_e32 v[6:7], v[26:27], v[6:7]
	s_branch .LBB32_84
.LBB32_83:                              ;   in Loop: Header=BB32_84 Depth=3
	s_or_b32 exec_lo, exec_lo, s20
	s_xor_b32 s20, s18, -1
	s_and_b32 s21, exec_lo, s19
	s_delay_alu instid0(SALU_CYCLE_1) | instskip(SKIP_2) | instid1(SALU_CYCLE_1)
	s_or_b32 s17, s21, s17
	s_and_not1_b32 s16, s16, exec_lo
	s_and_b32 s20, s20, exec_lo
	s_or_b32 s16, s16, s20
	s_and_not1_b32 exec_lo, exec_lo, s17
	s_cbranch_execz .LBB32_86
.LBB32_84:                              ;   Parent Loop BB32_8 Depth=1
                                        ;     Parent Loop BB32_47 Depth=2
                                        ; =>    This Inner Loop Header: Depth=3
	flat_load_b128 v[44:47], v[4:5]
	v_mov_b64_e32 v[116:117], v[6:7]
	flat_load_b64 v[6:7], v[6:7]
	s_or_b32 s18, s18, exec_lo
	s_or_b32 s19, s19, exec_lo
	v_mov_b32_e32 v93, v36
                                        ; implicit-def: $vgpr36
	s_wait_loadcnt_dscnt 0x101
	v_mul_f64_e32 v[44:45], v[44:45], v[46:47]
	s_wait_loadcnt_dscnt 0x0
	v_mul_f64_e32 v[6:7], v[6:7], v[6:7]
	s_delay_alu instid0(VALU_DEP_2) | instskip(NEXT) | instid1(VALU_DEP_1)
	v_mul_f64_e64 v[44:45], v[38:39], |v[44:45]|
	v_cmp_nle_f64_e64 s21, |v[6:7]|, v[44:45]
                                        ; implicit-def: $vgpr6_vgpr7
	s_and_saveexec_b32 s20, s21
	s_cbranch_execz .LBB32_83
; %bb.85:                               ;   in Loop: Header=BB32_84 Depth=3
	v_add_nc_u32_e32 v36, 1, v93
	v_add_nc_u64_e32 v[4:5], 8, v[4:5]
	v_add_nc_u64_e32 v[6:7], 8, v[116:117]
	s_and_not1_b32 s19, s19, exec_lo
	s_and_not1_b32 s18, s18, exec_lo
	v_cmp_ge_i32_e32 vcc_lo, v36, v42
	s_and_b32 s21, vcc_lo, exec_lo
	s_delay_alu instid0(SALU_CYCLE_1)
	s_or_b32 s19, s19, s21
	s_branch .LBB32_83
.LBB32_86:                              ;   in Loop: Header=BB32_47 Depth=2
	s_or_b32 exec_lo, exec_lo, s17
	v_mov_b64_e32 v[46:47], v[102:103]
	v_mov_b32_e32 v4, v42
	s_and_not1_b32 s5, s5, exec_lo
	s_and_b32 s16, s16, exec_lo
	s_mov_b32 s17, exec_lo
	s_or_b32 s5, s5, s16
	s_or_b32 exec_lo, exec_lo, s15
                                        ; implicit-def: $vgpr36
	s_and_saveexec_b32 s15, s5
	s_cbranch_execz .LBB32_53
.LBB32_87:                              ;   in Loop: Header=BB32_47 Depth=2
	s_wait_loadcnt 0x0
	s_clause 0x1
	global_load_b32 v36, v[20:21], off offset:4
	global_load_b32 v5, v[20:21], off offset:16
	s_and_not1_b32 s17, s17, exec_lo
	s_wait_loadcnt 0x1
	ds_store_b32 v36, v4
	s_wait_loadcnt 0x0
	ds_store_b32 v5, v40
	s_or_b32 exec_lo, exec_lo, s15
	s_and_saveexec_b32 s5, s17
	s_cbranch_execnz .LBB32_54
	s_branch .LBB32_55
.LBB32_88:                              ;   in Loop: Header=BB32_47 Depth=2
	s_or_b32 exec_lo, exec_lo, s18
.LBB32_89:                              ;   in Loop: Header=BB32_47 Depth=2
	s_delay_alu instid0(SALU_CYCLE_1)
	s_or_b32 exec_lo, exec_lo, s17
	ds_load_b64 v[46:47], v41
.LBB32_90:                              ;   in Loop: Header=BB32_47 Depth=2
	s_or_b32 exec_lo, exec_lo, s16
	flat_load_b64 v[4:5], v[42:43]
                                        ; implicit-def: $vgpr40
	s_wait_loadcnt_dscnt 0x0
	v_add_f64_e64 v[4:5], v[4:5], -v[46:47]
                                        ; implicit-def: $vgpr46_vgpr47
	flat_store_b64 v[42:43], v[4:5]
	flat_store_b64 v[44:45], v[6:7]
                                        ; implicit-def: $vgpr42_vgpr43
                                        ; implicit-def: $vgpr44_vgpr45
                                        ; implicit-def: $vgpr6_vgpr7
.LBB32_91:                              ;   in Loop: Header=BB32_47 Depth=2
	s_wait_xcnt 0x0
	s_and_not1_saveexec_b32 s16, s5
	s_cbranch_execz .LBB32_130
; %bb.92:                               ;   in Loop: Header=BB32_47 Depth=2
	flat_load_b64 v[4:5], v[42:43] offset:8
	flat_load_b64 v[60:61], v[44:45]
                                        ; implicit-def: $vgpr62_vgpr63
	s_wait_loadcnt_dscnt 0x101
	v_add_f64_e64 v[58:59], v[6:7], -v[4:5]
	s_wait_loadcnt_dscnt 0x0
	v_add_f64_e32 v[56:57], v[60:61], v[60:61]
	s_delay_alu instid0(VALU_DEP_1) | instskip(SKIP_2) | instid1(SALU_CYCLE_1)
	v_cmp_ngt_f64_e64 s5, |v[58:59]|, |v[56:57]|
	s_wait_xcnt 0x0
	s_and_saveexec_b32 s17, s5
	s_xor_b32 s5, exec_lo, s17
	s_cbranch_execz .LBB32_98
; %bb.93:                               ;   in Loop: Header=BB32_47 Depth=2
	v_cmp_nlt_f64_e64 s17, |v[58:59]|, |v[56:57]|
                                        ; implicit-def: $vgpr62_vgpr63
	s_and_saveexec_b32 s18, s17
	s_delay_alu instid0(SALU_CYCLE_1)
	s_xor_b32 s17, exec_lo, s18
; %bb.94:                               ;   in Loop: Header=BB32_47 Depth=2
	v_mul_f64_e64 v[62:63], |v[56:57]|, s[6:7]
; %bb.95:                               ;   in Loop: Header=BB32_47 Depth=2
	s_and_not1_saveexec_b32 s17, s17
	s_cbranch_execz .LBB32_97
; %bb.96:                               ;   in Loop: Header=BB32_47 Depth=2
	v_and_b32_e32 v63, 0x7fffffff, v59
	v_dual_mov_b32 v62, v58 :: v_dual_mov_b32 v72, v56
	v_and_b32_e32 v73, 0x7fffffff, v57
	s_delay_alu instid0(VALU_DEP_1) | instskip(SKIP_1) | instid1(VALU_DEP_2)
	v_div_scale_f64 v[74:75], null, v[72:73], v[72:73], v[62:63]
	v_div_scale_f64 v[62:63], vcc_lo, v[62:63], v[72:73], v[62:63]
	v_rcp_f64_e32 v[76:77], v[74:75]
	v_nop
	s_delay_alu instid0(TRANS32_DEP_1) | instskip(NEXT) | instid1(VALU_DEP_1)
	v_fma_f64 v[78:79], -v[74:75], v[76:77], 1.0
	v_fmac_f64_e32 v[76:77], v[76:77], v[78:79]
	s_delay_alu instid0(VALU_DEP_1) | instskip(NEXT) | instid1(VALU_DEP_1)
	v_fma_f64 v[78:79], -v[74:75], v[76:77], 1.0
	v_fmac_f64_e32 v[76:77], v[76:77], v[78:79]
	s_delay_alu instid0(VALU_DEP_1) | instskip(NEXT) | instid1(VALU_DEP_1)
	v_mul_f64_e32 v[72:73], v[62:63], v[76:77]
	v_fma_f64 v[62:63], -v[74:75], v[72:73], v[62:63]
	s_delay_alu instid0(VALU_DEP_1) | instskip(NEXT) | instid1(VALU_DEP_1)
	v_div_fmas_f64 v[62:63], v[62:63], v[76:77], v[72:73]
	v_div_fixup_f64 v[62:63], v[62:63], |v[56:57]|, |v[58:59]|
	s_delay_alu instid0(VALU_DEP_1) | instskip(NEXT) | instid1(VALU_DEP_1)
	v_fma_f64 v[62:63], v[62:63], v[62:63], 1.0
	v_cmp_gt_f64_e32 vcc_lo, 0x10000000, v[62:63]
	v_cndmask_b32_e64 v41, 0, 0x100, vcc_lo
	s_delay_alu instid0(VALU_DEP_1) | instskip(SKIP_1) | instid1(VALU_DEP_2)
	v_ldexp_f64 v[62:63], v[62:63], v41
	v_cndmask_b32_e64 v41, 0, 0xffffff80, vcc_lo
	v_rsq_f64_e32 v[72:73], v[62:63]
	v_cmp_class_f64_e64 vcc_lo, v[62:63], 0x260
	s_delay_alu instid0(TRANS32_DEP_1) | instskip(SKIP_1) | instid1(VALU_DEP_1)
	v_mul_f64_e32 v[74:75], v[62:63], v[72:73]
	v_mul_f64_e32 v[72:73], 0.5, v[72:73]
	v_fma_f64 v[76:77], -v[72:73], v[74:75], 0.5
	s_delay_alu instid0(VALU_DEP_1) | instskip(SKIP_1) | instid1(VALU_DEP_2)
	v_fmac_f64_e32 v[74:75], v[74:75], v[76:77]
	v_fmac_f64_e32 v[72:73], v[72:73], v[76:77]
	v_fma_f64 v[76:77], -v[74:75], v[74:75], v[62:63]
	s_delay_alu instid0(VALU_DEP_1) | instskip(NEXT) | instid1(VALU_DEP_1)
	v_fmac_f64_e32 v[74:75], v[76:77], v[72:73]
	v_fma_f64 v[76:77], -v[74:75], v[74:75], v[62:63]
	s_delay_alu instid0(VALU_DEP_1) | instskip(NEXT) | instid1(VALU_DEP_1)
	v_fmac_f64_e32 v[74:75], v[76:77], v[72:73]
	v_ldexp_f64 v[72:73], v[74:75], v41
	s_delay_alu instid0(VALU_DEP_1) | instskip(NEXT) | instid1(VALU_DEP_1)
	v_dual_cndmask_b32 v63, v73, v63 :: v_dual_cndmask_b32 v62, v72, v62
	v_mul_f64_e64 v[62:63], |v[56:57]|, v[62:63]
.LBB32_97:                              ;   in Loop: Header=BB32_47 Depth=2
	s_or_b32 exec_lo, exec_lo, s17
.LBB32_98:                              ;   in Loop: Header=BB32_47 Depth=2
	s_and_not1_saveexec_b32 s5, s5
	s_cbranch_execz .LBB32_100
; %bb.99:                               ;   in Loop: Header=BB32_47 Depth=2
	v_and_b32_e32 v63, 0x7fffffff, v57
	v_dual_mov_b32 v62, v56 :: v_dual_mov_b32 v72, v58
	v_and_b32_e32 v73, 0x7fffffff, v59
	s_delay_alu instid0(VALU_DEP_1) | instskip(SKIP_1) | instid1(VALU_DEP_2)
	v_div_scale_f64 v[74:75], null, v[72:73], v[72:73], v[62:63]
	v_div_scale_f64 v[62:63], vcc_lo, v[62:63], v[72:73], v[62:63]
	v_rcp_f64_e32 v[76:77], v[74:75]
	v_nop
	s_delay_alu instid0(TRANS32_DEP_1) | instskip(NEXT) | instid1(VALU_DEP_1)
	v_fma_f64 v[78:79], -v[74:75], v[76:77], 1.0
	v_fmac_f64_e32 v[76:77], v[76:77], v[78:79]
	s_delay_alu instid0(VALU_DEP_1) | instskip(NEXT) | instid1(VALU_DEP_1)
	v_fma_f64 v[78:79], -v[74:75], v[76:77], 1.0
	v_fmac_f64_e32 v[76:77], v[76:77], v[78:79]
	s_delay_alu instid0(VALU_DEP_1) | instskip(NEXT) | instid1(VALU_DEP_1)
	v_mul_f64_e32 v[72:73], v[62:63], v[76:77]
	v_fma_f64 v[62:63], -v[74:75], v[72:73], v[62:63]
	s_delay_alu instid0(VALU_DEP_1) | instskip(NEXT) | instid1(VALU_DEP_1)
	v_div_fmas_f64 v[62:63], v[62:63], v[76:77], v[72:73]
	v_div_fixup_f64 v[62:63], v[62:63], |v[58:59]|, |v[56:57]|
	s_delay_alu instid0(VALU_DEP_1) | instskip(NEXT) | instid1(VALU_DEP_1)
	v_fma_f64 v[62:63], v[62:63], v[62:63], 1.0
	v_cmp_gt_f64_e32 vcc_lo, 0x10000000, v[62:63]
	v_cndmask_b32_e64 v41, 0, 0x100, vcc_lo
	s_delay_alu instid0(VALU_DEP_1) | instskip(SKIP_1) | instid1(VALU_DEP_2)
	v_ldexp_f64 v[62:63], v[62:63], v41
	v_cndmask_b32_e64 v41, 0, 0xffffff80, vcc_lo
	v_rsq_f64_e32 v[72:73], v[62:63]
	v_cmp_class_f64_e64 vcc_lo, v[62:63], 0x260
	s_delay_alu instid0(TRANS32_DEP_1) | instskip(SKIP_1) | instid1(VALU_DEP_1)
	v_mul_f64_e32 v[74:75], v[62:63], v[72:73]
	v_mul_f64_e32 v[72:73], 0.5, v[72:73]
	v_fma_f64 v[76:77], -v[72:73], v[74:75], 0.5
	s_delay_alu instid0(VALU_DEP_1) | instskip(SKIP_1) | instid1(VALU_DEP_2)
	v_fmac_f64_e32 v[74:75], v[74:75], v[76:77]
	v_fmac_f64_e32 v[72:73], v[72:73], v[76:77]
	v_fma_f64 v[76:77], -v[74:75], v[74:75], v[62:63]
	s_delay_alu instid0(VALU_DEP_1) | instskip(NEXT) | instid1(VALU_DEP_1)
	v_fmac_f64_e32 v[74:75], v[76:77], v[72:73]
	v_fma_f64 v[76:77], -v[74:75], v[74:75], v[62:63]
	s_delay_alu instid0(VALU_DEP_1) | instskip(NEXT) | instid1(VALU_DEP_1)
	v_fmac_f64_e32 v[74:75], v[76:77], v[72:73]
	v_ldexp_f64 v[72:73], v[74:75], v41
	s_delay_alu instid0(VALU_DEP_1) | instskip(NEXT) | instid1(VALU_DEP_1)
	v_dual_cndmask_b32 v63, v73, v63 :: v_dual_cndmask_b32 v62, v72, v62
	v_mul_f64_e64 v[62:63], |v[58:59]|, v[62:63]
.LBB32_100:                             ;   in Loop: Header=BB32_47 Depth=2
	s_or_b32 exec_lo, exec_lo, s5
	v_cmp_gt_f64_e64 vcc_lo, |v[6:7]|, |v[4:5]|
	s_delay_alu instid0(VALU_DEP_1) | instskip(NEXT) | instid1(VALU_DEP_1)
	v_dual_add_f64 v[76:77], v[6:7], v[4:5] :: v_dual_cndmask_b32 v75, v5, v7, vcc_lo
	v_cmp_ngt_f64_e64 s5, 0, v[76:77]
	v_dual_cndmask_b32 v73, v7, v5 :: v_dual_cndmask_b32 v72, v6, v4
	v_cndmask_b32_e32 v74, v4, v6, vcc_lo
                                        ; implicit-def: $vgpr6_vgpr7
	s_and_saveexec_b32 s17, s5
	s_delay_alu instid0(SALU_CYCLE_1)
	s_xor_b32 s5, exec_lo, s17
	s_cbranch_execz .LBB32_106
; %bb.101:                              ;   in Loop: Header=BB32_47 Depth=2
	s_mov_b32 s17, exec_lo
                                        ; implicit-def: $vgpr6_vgpr7
	v_cmpx_nlt_f64_e32 0, v[76:77]
	s_xor_b32 s17, exec_lo, s17
	s_cbranch_execz .LBB32_103
; %bb.102:                              ;   in Loop: Header=BB32_47 Depth=2
	v_mul_f64_e32 v[4:5], 0.5, v[62:63]
	v_mul_f64_e32 v[6:7], -0.5, v[62:63]
                                        ; implicit-def: $vgpr76_vgpr77
                                        ; implicit-def: $vgpr74_vgpr75
                                        ; implicit-def: $vgpr60_vgpr61
                                        ; implicit-def: $vgpr72_vgpr73
.LBB32_103:                             ;   in Loop: Header=BB32_47 Depth=2
	s_and_not1_saveexec_b32 s17, s17
	s_cbranch_execz .LBB32_105
; %bb.104:                              ;   in Loop: Header=BB32_47 Depth=2
	v_add_f64_e32 v[4:5], v[76:77], v[62:63]
	s_delay_alu instid0(VALU_DEP_1) | instskip(NEXT) | instid1(VALU_DEP_1)
	v_mul_f64_e32 v[4:5], 0.5, v[4:5]
	v_div_scale_f64 v[6:7], null, v[4:5], v[4:5], v[74:75]
	s_delay_alu instid0(VALU_DEP_1) | instskip(SKIP_1) | instid1(TRANS32_DEP_1)
	v_rcp_f64_e32 v[76:77], v[6:7]
	v_nop
	v_fma_f64 v[78:79], -v[6:7], v[76:77], 1.0
	s_delay_alu instid0(VALU_DEP_1) | instskip(NEXT) | instid1(VALU_DEP_1)
	v_fmac_f64_e32 v[76:77], v[76:77], v[78:79]
	v_fma_f64 v[78:79], -v[6:7], v[76:77], 1.0
	s_delay_alu instid0(VALU_DEP_1) | instskip(SKIP_1) | instid1(VALU_DEP_1)
	v_fmac_f64_e32 v[76:77], v[76:77], v[78:79]
	v_div_scale_f64 v[78:79], vcc_lo, v[74:75], v[4:5], v[74:75]
	v_mul_f64_e32 v[88:89], v[78:79], v[76:77]
	s_delay_alu instid0(VALU_DEP_1) | instskip(NEXT) | instid1(VALU_DEP_1)
	v_fma_f64 v[6:7], -v[6:7], v[88:89], v[78:79]
	v_div_fmas_f64 v[6:7], v[6:7], v[76:77], v[88:89]
	s_delay_alu instid0(VALU_DEP_1) | instskip(SKIP_1) | instid1(VALU_DEP_1)
	v_div_fixup_f64 v[6:7], v[6:7], v[4:5], v[74:75]
	v_div_scale_f64 v[74:75], null, v[4:5], v[4:5], v[60:61]
	v_rcp_f64_e32 v[76:77], v[74:75]
	v_nop
	s_delay_alu instid0(TRANS32_DEP_1) | instskip(NEXT) | instid1(VALU_DEP_1)
	v_fma_f64 v[78:79], -v[74:75], v[76:77], 1.0
	v_fmac_f64_e32 v[76:77], v[76:77], v[78:79]
	s_delay_alu instid0(VALU_DEP_1) | instskip(NEXT) | instid1(VALU_DEP_1)
	v_fma_f64 v[78:79], -v[74:75], v[76:77], 1.0
	v_fmac_f64_e32 v[76:77], v[76:77], v[78:79]
	v_div_scale_f64 v[78:79], vcc_lo, v[60:61], v[4:5], v[60:61]
	s_delay_alu instid0(VALU_DEP_1) | instskip(NEXT) | instid1(VALU_DEP_1)
	v_mul_f64_e32 v[88:89], v[78:79], v[76:77]
	v_fma_f64 v[74:75], -v[74:75], v[88:89], v[78:79]
	s_delay_alu instid0(VALU_DEP_1) | instskip(NEXT) | instid1(VALU_DEP_1)
	v_div_fmas_f64 v[74:75], v[74:75], v[76:77], v[88:89]
	v_div_fixup_f64 v[74:75], v[74:75], v[4:5], v[60:61]
	s_delay_alu instid0(VALU_DEP_1) | instskip(NEXT) | instid1(VALU_DEP_1)
	v_mul_f64_e32 v[60:61], v[60:61], v[74:75]
	v_fma_f64 v[6:7], v[72:73], v[6:7], -v[60:61]
.LBB32_105:                             ;   in Loop: Header=BB32_47 Depth=2
	s_or_b32 exec_lo, exec_lo, s17
                                        ; implicit-def: $vgpr76_vgpr77
                                        ; implicit-def: $vgpr74_vgpr75
                                        ; implicit-def: $vgpr60_vgpr61
                                        ; implicit-def: $vgpr72_vgpr73
.LBB32_106:                             ;   in Loop: Header=BB32_47 Depth=2
	s_or_saveexec_b32 s5, s5
	v_mov_b32_e32 v41, 1
	s_xor_b32 exec_lo, exec_lo, s5
	s_cbranch_execz .LBB32_108
; %bb.107:                              ;   in Loop: Header=BB32_47 Depth=2
	v_dual_add_f64 v[4:5], v[76:77], -v[62:63] :: v_dual_mov_b32 v41, -1
	s_delay_alu instid0(VALU_DEP_1) | instskip(NEXT) | instid1(VALU_DEP_1)
	v_mul_f64_e32 v[4:5], 0.5, v[4:5]
	v_div_scale_f64 v[6:7], null, v[4:5], v[4:5], v[74:75]
	s_delay_alu instid0(VALU_DEP_1) | instskip(SKIP_1) | instid1(TRANS32_DEP_1)
	v_rcp_f64_e32 v[76:77], v[6:7]
	v_nop
	v_fma_f64 v[78:79], -v[6:7], v[76:77], 1.0
	s_delay_alu instid0(VALU_DEP_1) | instskip(NEXT) | instid1(VALU_DEP_1)
	v_fmac_f64_e32 v[76:77], v[76:77], v[78:79]
	v_fma_f64 v[78:79], -v[6:7], v[76:77], 1.0
	s_delay_alu instid0(VALU_DEP_1) | instskip(SKIP_1) | instid1(VALU_DEP_1)
	v_fmac_f64_e32 v[76:77], v[76:77], v[78:79]
	v_div_scale_f64 v[78:79], vcc_lo, v[74:75], v[4:5], v[74:75]
	v_mul_f64_e32 v[88:89], v[78:79], v[76:77]
	s_delay_alu instid0(VALU_DEP_1) | instskip(NEXT) | instid1(VALU_DEP_1)
	v_fma_f64 v[6:7], -v[6:7], v[88:89], v[78:79]
	v_div_fmas_f64 v[6:7], v[6:7], v[76:77], v[88:89]
	s_delay_alu instid0(VALU_DEP_1) | instskip(SKIP_1) | instid1(VALU_DEP_1)
	v_div_fixup_f64 v[6:7], v[6:7], v[4:5], v[74:75]
	v_div_scale_f64 v[74:75], null, v[4:5], v[4:5], v[60:61]
	v_rcp_f64_e32 v[76:77], v[74:75]
	v_nop
	s_delay_alu instid0(TRANS32_DEP_1) | instskip(NEXT) | instid1(VALU_DEP_1)
	v_fma_f64 v[78:79], -v[74:75], v[76:77], 1.0
	v_fmac_f64_e32 v[76:77], v[76:77], v[78:79]
	s_delay_alu instid0(VALU_DEP_1) | instskip(NEXT) | instid1(VALU_DEP_1)
	v_fma_f64 v[78:79], -v[74:75], v[76:77], 1.0
	v_fmac_f64_e32 v[76:77], v[76:77], v[78:79]
	v_div_scale_f64 v[78:79], vcc_lo, v[60:61], v[4:5], v[60:61]
	s_delay_alu instid0(VALU_DEP_1) | instskip(NEXT) | instid1(VALU_DEP_1)
	v_mul_f64_e32 v[88:89], v[78:79], v[76:77]
	v_fma_f64 v[74:75], -v[74:75], v[88:89], v[78:79]
	s_delay_alu instid0(VALU_DEP_1) | instskip(NEXT) | instid1(VALU_DEP_1)
	v_div_fmas_f64 v[74:75], v[74:75], v[76:77], v[88:89]
	v_div_fixup_f64 v[74:75], v[74:75], v[4:5], v[60:61]
	s_delay_alu instid0(VALU_DEP_1) | instskip(NEXT) | instid1(VALU_DEP_1)
	v_mul_f64_e32 v[60:61], v[60:61], v[74:75]
	v_fma_f64 v[6:7], v[72:73], v[6:7], -v[60:61]
.LBB32_108:                             ;   in Loop: Header=BB32_47 Depth=2
	s_or_b32 exec_lo, exec_lo, s5
	s_delay_alu instid0(SALU_CYCLE_1)
	s_mov_b32 s5, exec_lo
                                        ; implicit-def: $vgpr60_vgpr61
	v_cmpx_le_f64_e32 0, v[58:59]
	s_xor_b32 s5, exec_lo, s5
; %bb.109:                              ;   in Loop: Header=BB32_47 Depth=2
	v_add_f64_e32 v[60:61], v[58:59], v[62:63]
                                        ; implicit-def: $vgpr62_vgpr63
                                        ; implicit-def: $vgpr58_vgpr59
; %bb.110:                              ;   in Loop: Header=BB32_47 Depth=2
	s_or_saveexec_b32 s5, s5
	v_mov_b32_e32 v72, 1
	s_xor_b32 exec_lo, exec_lo, s5
; %bb.111:                              ;   in Loop: Header=BB32_47 Depth=2
	v_dual_add_f64 v[60:61], v[58:59], -v[62:63] :: v_dual_mov_b32 v72, -1
; %bb.112:                              ;   in Loop: Header=BB32_47 Depth=2
	s_or_b32 exec_lo, exec_lo, s5
	s_delay_alu instid0(VALU_DEP_1) | instskip(SKIP_1) | instid1(SALU_CYCLE_1)
	v_cmp_ngt_f64_e64 s5, |v[60:61]|, |v[56:57]|
                                        ; implicit-def: $vgpr62_vgpr63
                                        ; implicit-def: $vgpr58_vgpr59
	s_and_saveexec_b32 s17, s5
	s_xor_b32 s5, exec_lo, s17
	s_cbranch_execz .LBB32_116
; %bb.113:                              ;   in Loop: Header=BB32_47 Depth=2
	v_mov_b64_e32 v[58:59], 0
	v_mov_b64_e32 v[62:63], 1.0
	s_mov_b32 s17, exec_lo
	v_cmpx_neq_f64_e32 0, v[56:57]
	s_cbranch_execz .LBB32_115
; %bb.114:                              ;   in Loop: Header=BB32_47 Depth=2
	v_div_scale_f64 v[58:59], null, v[56:57], v[56:57], -v[60:61]
	v_div_scale_f64 v[76:77], vcc_lo, -v[60:61], v[56:57], -v[60:61]
	s_delay_alu instid0(VALU_DEP_2) | instskip(SKIP_1) | instid1(TRANS32_DEP_1)
	v_rcp_f64_e32 v[62:63], v[58:59]
	v_nop
	v_fma_f64 v[74:75], -v[58:59], v[62:63], 1.0
	s_delay_alu instid0(VALU_DEP_1) | instskip(NEXT) | instid1(VALU_DEP_1)
	v_fmac_f64_e32 v[62:63], v[62:63], v[74:75]
	v_fma_f64 v[74:75], -v[58:59], v[62:63], 1.0
	s_delay_alu instid0(VALU_DEP_1) | instskip(NEXT) | instid1(VALU_DEP_1)
	v_fmac_f64_e32 v[62:63], v[62:63], v[74:75]
	v_mul_f64_e32 v[74:75], v[76:77], v[62:63]
	s_delay_alu instid0(VALU_DEP_1) | instskip(NEXT) | instid1(VALU_DEP_1)
	v_fma_f64 v[58:59], -v[58:59], v[74:75], v[76:77]
	v_div_fmas_f64 v[58:59], v[58:59], v[62:63], v[74:75]
	s_delay_alu instid0(VALU_DEP_1) | instskip(NEXT) | instid1(VALU_DEP_1)
	v_div_fixup_f64 v[56:57], v[58:59], v[56:57], -v[60:61]
	v_fma_f64 v[58:59], v[56:57], v[56:57], 1.0
	s_delay_alu instid0(VALU_DEP_1) | instskip(SKIP_1) | instid1(VALU_DEP_1)
	v_cmp_gt_f64_e32 vcc_lo, 0x10000000, v[58:59]
	v_cndmask_b32_e64 v60, 0, 0x100, vcc_lo
	v_ldexp_f64 v[58:59], v[58:59], v60
	s_delay_alu instid0(VALU_DEP_1) | instskip(SKIP_1) | instid1(TRANS32_DEP_1)
	v_rsq_f64_e32 v[60:61], v[58:59]
	v_nop
	v_mul_f64_e32 v[62:63], v[58:59], v[60:61]
	v_mul_f64_e32 v[60:61], 0.5, v[60:61]
	s_delay_alu instid0(VALU_DEP_1) | instskip(NEXT) | instid1(VALU_DEP_1)
	v_fma_f64 v[74:75], -v[60:61], v[62:63], 0.5
	v_fmac_f64_e32 v[62:63], v[62:63], v[74:75]
	v_fmac_f64_e32 v[60:61], v[60:61], v[74:75]
	s_delay_alu instid0(VALU_DEP_2) | instskip(NEXT) | instid1(VALU_DEP_1)
	v_fma_f64 v[74:75], -v[62:63], v[62:63], v[58:59]
	v_fmac_f64_e32 v[62:63], v[74:75], v[60:61]
	s_delay_alu instid0(VALU_DEP_1) | instskip(NEXT) | instid1(VALU_DEP_1)
	v_fma_f64 v[74:75], -v[62:63], v[62:63], v[58:59]
	v_fmac_f64_e32 v[62:63], v[74:75], v[60:61]
	v_cndmask_b32_e64 v60, 0, 0xffffff80, vcc_lo
	v_cmp_class_f64_e64 vcc_lo, v[58:59], 0x260
	s_delay_alu instid0(VALU_DEP_2) | instskip(NEXT) | instid1(VALU_DEP_1)
	v_ldexp_f64 v[60:61], v[62:63], v60
	v_dual_cndmask_b32 v59, v61, v59 :: v_dual_cndmask_b32 v58, v60, v58
	s_delay_alu instid0(VALU_DEP_1) | instskip(NEXT) | instid1(VALU_DEP_1)
	v_div_scale_f64 v[60:61], null, v[58:59], v[58:59], 1.0
	v_rcp_f64_e32 v[62:63], v[60:61]
	v_nop
	s_delay_alu instid0(TRANS32_DEP_1) | instskip(NEXT) | instid1(VALU_DEP_1)
	v_fma_f64 v[74:75], -v[60:61], v[62:63], 1.0
	v_fmac_f64_e32 v[62:63], v[62:63], v[74:75]
	s_delay_alu instid0(VALU_DEP_1) | instskip(NEXT) | instid1(VALU_DEP_1)
	v_fma_f64 v[74:75], -v[60:61], v[62:63], 1.0
	v_fmac_f64_e32 v[62:63], v[62:63], v[74:75]
	v_div_scale_f64 v[74:75], vcc_lo, 1.0, v[58:59], 1.0
	s_delay_alu instid0(VALU_DEP_1) | instskip(NEXT) | instid1(VALU_DEP_1)
	v_mul_f64_e32 v[76:77], v[74:75], v[62:63]
	v_fma_f64 v[60:61], -v[60:61], v[76:77], v[74:75]
	s_delay_alu instid0(VALU_DEP_1) | instskip(NEXT) | instid1(VALU_DEP_1)
	v_div_fmas_f64 v[60:61], v[60:61], v[62:63], v[76:77]
	v_div_fixup_f64 v[62:63], v[60:61], v[58:59], 1.0
	s_delay_alu instid0(VALU_DEP_1)
	v_mul_f64_e32 v[58:59], v[56:57], v[62:63]
.LBB32_115:                             ;   in Loop: Header=BB32_47 Depth=2
	s_or_b32 exec_lo, exec_lo, s17
                                        ; implicit-def: $vgpr60_vgpr61
                                        ; implicit-def: $vgpr56_vgpr57
.LBB32_116:                             ;   in Loop: Header=BB32_47 Depth=2
	s_and_not1_saveexec_b32 s5, s5
	s_cbranch_execz .LBB32_118
; %bb.117:                              ;   in Loop: Header=BB32_47 Depth=2
	v_div_scale_f64 v[58:59], null, v[60:61], v[60:61], -v[56:57]
	v_div_scale_f64 v[76:77], vcc_lo, -v[56:57], v[60:61], -v[56:57]
	s_delay_alu instid0(VALU_DEP_2) | instskip(SKIP_1) | instid1(TRANS32_DEP_1)
	v_rcp_f64_e32 v[62:63], v[58:59]
	v_nop
	v_fma_f64 v[74:75], -v[58:59], v[62:63], 1.0
	s_delay_alu instid0(VALU_DEP_1) | instskip(NEXT) | instid1(VALU_DEP_1)
	v_fmac_f64_e32 v[62:63], v[62:63], v[74:75]
	v_fma_f64 v[74:75], -v[58:59], v[62:63], 1.0
	s_delay_alu instid0(VALU_DEP_1) | instskip(NEXT) | instid1(VALU_DEP_1)
	v_fmac_f64_e32 v[62:63], v[62:63], v[74:75]
	v_mul_f64_e32 v[74:75], v[76:77], v[62:63]
	s_delay_alu instid0(VALU_DEP_1) | instskip(NEXT) | instid1(VALU_DEP_1)
	v_fma_f64 v[58:59], -v[58:59], v[74:75], v[76:77]
	v_div_fmas_f64 v[58:59], v[58:59], v[62:63], v[74:75]
	s_delay_alu instid0(VALU_DEP_1) | instskip(NEXT) | instid1(VALU_DEP_1)
	v_div_fixup_f64 v[56:57], v[58:59], v[60:61], -v[56:57]
	v_fma_f64 v[58:59], v[56:57], v[56:57], 1.0
	s_delay_alu instid0(VALU_DEP_1) | instskip(SKIP_1) | instid1(VALU_DEP_1)
	v_cmp_gt_f64_e32 vcc_lo, 0x10000000, v[58:59]
	v_cndmask_b32_e64 v60, 0, 0x100, vcc_lo
	v_ldexp_f64 v[58:59], v[58:59], v60
	s_delay_alu instid0(VALU_DEP_1) | instskip(SKIP_1) | instid1(TRANS32_DEP_1)
	v_rsq_f64_e32 v[60:61], v[58:59]
	v_nop
	v_mul_f64_e32 v[62:63], v[58:59], v[60:61]
	v_mul_f64_e32 v[60:61], 0.5, v[60:61]
	s_delay_alu instid0(VALU_DEP_1) | instskip(NEXT) | instid1(VALU_DEP_1)
	v_fma_f64 v[74:75], -v[60:61], v[62:63], 0.5
	v_fmac_f64_e32 v[62:63], v[62:63], v[74:75]
	v_fmac_f64_e32 v[60:61], v[60:61], v[74:75]
	s_delay_alu instid0(VALU_DEP_2) | instskip(NEXT) | instid1(VALU_DEP_1)
	v_fma_f64 v[74:75], -v[62:63], v[62:63], v[58:59]
	v_fmac_f64_e32 v[62:63], v[74:75], v[60:61]
	s_delay_alu instid0(VALU_DEP_1) | instskip(NEXT) | instid1(VALU_DEP_1)
	v_fma_f64 v[74:75], -v[62:63], v[62:63], v[58:59]
	v_fmac_f64_e32 v[62:63], v[74:75], v[60:61]
	v_cndmask_b32_e64 v60, 0, 0xffffff80, vcc_lo
	v_cmp_class_f64_e64 vcc_lo, v[58:59], 0x260
	s_delay_alu instid0(VALU_DEP_2) | instskip(NEXT) | instid1(VALU_DEP_1)
	v_ldexp_f64 v[60:61], v[62:63], v60
	v_dual_cndmask_b32 v59, v61, v59 :: v_dual_cndmask_b32 v58, v60, v58
	s_delay_alu instid0(VALU_DEP_1) | instskip(NEXT) | instid1(VALU_DEP_1)
	v_div_scale_f64 v[60:61], null, v[58:59], v[58:59], 1.0
	v_rcp_f64_e32 v[62:63], v[60:61]
	v_nop
	s_delay_alu instid0(TRANS32_DEP_1) | instskip(NEXT) | instid1(VALU_DEP_1)
	v_fma_f64 v[74:75], -v[60:61], v[62:63], 1.0
	v_fmac_f64_e32 v[62:63], v[62:63], v[74:75]
	s_delay_alu instid0(VALU_DEP_1) | instskip(NEXT) | instid1(VALU_DEP_1)
	v_fma_f64 v[74:75], -v[60:61], v[62:63], 1.0
	v_fmac_f64_e32 v[62:63], v[62:63], v[74:75]
	v_div_scale_f64 v[74:75], vcc_lo, 1.0, v[58:59], 1.0
	s_delay_alu instid0(VALU_DEP_1) | instskip(NEXT) | instid1(VALU_DEP_1)
	v_mul_f64_e32 v[76:77], v[74:75], v[62:63]
	v_fma_f64 v[60:61], -v[60:61], v[76:77], v[74:75]
	s_delay_alu instid0(VALU_DEP_1) | instskip(NEXT) | instid1(VALU_DEP_1)
	v_div_fmas_f64 v[60:61], v[60:61], v[62:63], v[76:77]
	v_div_fixup_f64 v[58:59], v[60:61], v[58:59], 1.0
	s_delay_alu instid0(VALU_DEP_1)
	v_mul_f64_e32 v[62:63], v[56:57], v[58:59]
.LBB32_118:                             ;   in Loop: Header=BB32_47 Depth=2
	s_or_b32 exec_lo, exec_lo, s5
	v_cmp_eq_u32_e32 vcc_lo, v41, v72
	s_delay_alu instid0(VALU_DEP_2) | instskip(SKIP_1) | instid1(VALU_DEP_4)
	v_xor_b32_e32 v41, 0x80000000, v59
	v_lshl_add_u64 v[46:47], v[46:47], 3, v[12:13]
	v_dual_cndmask_b32 v57, v59, v63 :: v_dual_add_nc_u32 v40, 2, v40
	s_delay_alu instid0(VALU_DEP_3) | instskip(SKIP_1) | instid1(VALU_DEP_4)
	v_dual_cndmask_b32 v56, v58, v62 :: v_dual_cndmask_b32 v59, v63, v41
	v_cndmask_b32_e32 v58, v62, v58, vcc_lo
	v_lshl_add_u64 v[60:61], v[2:3], 3, v[46:47]
	s_clause 0x1
	flat_store_b64 v[46:47], v[58:59]
	flat_store_b64 v[60:61], v[56:57] offset:-8
	flat_store_b128 v[42:43], v[4:7]
	flat_store_b64 v[44:45], v[86:87]
	ds_store_b32 v35, v40
	s_wait_xcnt 0x0
	s_or_b32 exec_lo, exec_lo, s16
                                        ; implicit-def: $vgpr42_vgpr43
                                        ; implicit-def: $vgpr6_vgpr7
                                        ; implicit-def: $vgpr5
.LBB32_119:                             ;   in Loop: Header=BB32_47 Depth=2
	s_and_not1_saveexec_b32 s5, s15
	s_cbranch_execz .LBB32_121
.LBB32_120:                             ;   in Loop: Header=BB32_47 Depth=2
	flat_store_b64 v[42:43], v[6:7]
	ds_store_b32 v35, v5
.LBB32_121:                             ;   in Loop: Header=BB32_47 Depth=2
	s_wait_xcnt 0x0
	s_or_b32 exec_lo, exec_lo, s5
.LBB32_122:                             ;   in Loop: Header=BB32_47 Depth=2
	s_delay_alu instid0(SALU_CYCLE_1)
	s_or_b32 exec_lo, exec_lo, s14
	s_wait_storecnt 0x0
	s_wait_loadcnt_dscnt 0x0
	s_barrier_signal -1
	s_barrier_wait -1
	ds_load_b32 v40, v36
	ds_load_b32 v4, v35
	s_mov_b32 s14, exec_lo
	s_wait_dscnt 0x0
	v_cmpx_ne_u32_e64 v40, v4
	s_cbranch_execz .LBB32_46
; %bb.123:                              ;   in Loop: Header=BB32_47 Depth=2
	s_and_saveexec_b32 s15, s3
	s_cbranch_execz .LBB32_45
; %bb.124:                              ;   in Loop: Header=BB32_47 Depth=2
	global_load_b32 v4, v[20:21], off offset:16
	s_mov_b32 s16, 0
	s_wait_loadcnt 0x0
	ds_load_b32 v42, v4
	s_wait_dscnt 0x0
	v_mul_lo_u32 v6, v42, v16
	v_dual_sub_nc_u32 v4, v40, v42 :: v_dual_ashrrev_i32 v43, 31, v42
	s_delay_alu instid0(VALU_DEP_1) | instskip(SKIP_1) | instid1(VALU_DEP_4)
	v_dual_ashrrev_i32 v5, 31, v4 :: v_dual_add_nc_u32 v36, -1, v4
	v_cmp_lt_i32_e32 vcc_lo, 0, v4
	v_ashrrev_i32_e32 v7, 31, v6
	s_delay_alu instid0(VALU_DEP_3) | instskip(NEXT) | instid1(VALU_DEP_4)
	v_mul_u64_e32 v[40:41], v[4:5], v[16:17]
	v_lshlrev_b64_e32 v[46:47], 3, v[36:37]
	s_delay_alu instid0(VALU_DEP_3) | instskip(NEXT) | instid1(VALU_DEP_2)
	v_lshlrev_b64_e32 v[6:7], 3, v[6:7]
	v_lshl_add_u64 v[42:43], v[42:43], 3, v[46:47]
	v_mov_b32_e32 v46, v0
	s_delay_alu instid0(VALU_DEP_3) | instskip(SKIP_1) | instid1(VALU_DEP_4)
	v_mad_nc_u64_u32 v[44:45], v54, v36, v[6:7]
	v_add_nc_u64_e32 v[6:7], v[8:9], v[6:7]
	v_add_nc_u64_e32 v[42:43], v[12:13], v[42:43]
	s_delay_alu instid0(VALU_DEP_3) | instskip(NEXT) | instid1(VALU_DEP_3)
	v_mad_u32 v45, v55, v36, v45
	v_lshl_add_u64 v[40:41], v[40:41], 3, v[6:7]
	s_delay_alu instid0(VALU_DEP_2)
	v_add_nc_u64_e32 v[44:45], v[82:83], v[44:45]
	s_branch .LBB32_126
.LBB32_125:                             ;   in Loop: Header=BB32_126 Depth=3
	s_or_b32 exec_lo, exec_lo, s17
	v_add_nc_u32_e32 v46, v46, v24
	v_add_nc_u64_e32 v[44:45], v[44:45], v[64:65]
	s_wait_loadcnt_dscnt 0x0
	flat_store_b64 v[56:57], v[58:59]
	v_cmp_ge_i32_e64 s5, v46, v2
	s_or_b32 s16, s5, s16
	s_wait_xcnt 0x0
	s_and_not1_b32 exec_lo, exec_lo, s16
	s_cbranch_execz .LBB32_45
.LBB32_126:                             ;   Parent Loop BB32_8 Depth=1
                                        ;     Parent Loop BB32_47 Depth=2
                                        ; =>    This Loop Header: Depth=3
                                        ;         Child Loop BB32_128 Depth 4
	v_ashrrev_i32_e32 v47, 31, v46
	s_delay_alu instid0(VALU_DEP_1) | instskip(NEXT) | instid1(VALU_DEP_1)
	v_lshlrev_b64_e32 v[56:57], 3, v[46:47]
	v_add_nc_u64_e32 v[58:59], v[40:41], v[56:57]
	v_add_nc_u64_e32 v[56:57], v[6:7], v[56:57]
	flat_load_b64 v[58:59], v[58:59]
	s_wait_xcnt 0x0
	s_and_saveexec_b32 s17, vcc_lo
	s_cbranch_execz .LBB32_125
; %bb.127:                              ;   in Loop: Header=BB32_126 Depth=3
	v_mov_b64_e32 v[60:61], v[44:45]
	v_mov_b64_e32 v[62:63], v[42:43]
	v_mov_b32_e32 v36, v4
	s_mov_b32 s18, 0
.LBB32_128:                             ;   Parent Loop BB32_8 Depth=1
                                        ;     Parent Loop BB32_47 Depth=2
                                        ;       Parent Loop BB32_126 Depth=3
                                        ; =>      This Inner Loop Header: Depth=4
	s_delay_alu instid0(VALU_DEP_2)
	v_add_nc_u64_e32 v[72:73], v[62:63], v[50:51]
	s_wait_loadcnt_dscnt 0x0
	v_mov_b64_e32 v[78:79], v[58:59]
	flat_load_b64 v[74:75], v[60:61]
	s_clause 0x1
	flat_load_b64 v[72:73], v[72:73]
	flat_load_b64 v[76:77], v[62:63]
	s_wait_xcnt 0x0
	v_add_nc_u64_e32 v[62:63], -8, v[62:63]
	v_add_nc_u64_e32 v[60:61], v[60:61], v[84:85]
	v_add_nc_u32_e32 v5, -1, v36
	s_delay_alu instid0(VALU_DEP_1)
	v_cmp_eq_u32_e64 s5, 0, v5
	s_or_b32 s18, s5, s18
	s_wait_loadcnt_dscnt 0x101
	v_mul_f64_e32 v[88:89], v[72:73], v[74:75]
	s_wait_loadcnt_dscnt 0x0
	v_mul_f64_e32 v[58:59], v[76:77], v[74:75]
	v_mul_u64_e32 v[74:75], v[36:37], v[16:17]
	s_delay_alu instid0(VALU_DEP_3) | instskip(NEXT) | instid1(VALU_DEP_3)
	v_dual_fma_f64 v[76:77], v[78:79], v[76:77], -v[88:89] :: v_dual_mov_b32 v36, v5
	v_fmac_f64_e32 v[58:59], v[78:79], v[72:73]
	s_delay_alu instid0(VALU_DEP_3)
	v_lshl_add_u64 v[72:73], v[74:75], 3, v[56:57]
	flat_store_b64 v[72:73], v[76:77]
	s_wait_xcnt 0x0
	s_and_not1_b32 exec_lo, exec_lo, s18
	s_cbranch_execnz .LBB32_128
; %bb.129:                              ;   in Loop: Header=BB32_126 Depth=3
	s_or_b32 exec_lo, exec_lo, s18
	s_branch .LBB32_125
.LBB32_130:                             ;   in Loop: Header=BB32_47 Depth=2
	s_or_b32 exec_lo, exec_lo, s16
                                        ; implicit-def: $vgpr42_vgpr43
                                        ; implicit-def: $vgpr6_vgpr7
                                        ; implicit-def: $vgpr5
	s_and_not1_saveexec_b32 s5, s15
	s_cbranch_execnz .LBB32_120
	s_branch .LBB32_121
.LBB32_131:                             ;   in Loop: Header=BB32_8 Depth=1
	v_mov_b32_e32 v4, v36
	s_mov_b32 s12, 0
                                        ; implicit-def: $sgpr11
                                        ; implicit-def: $sgpr14
                                        ; implicit-def: $sgpr13
	s_delay_alu instid0(VALU_DEP_1) | instskip(SKIP_1) | instid1(VALU_DEP_2)
	v_lshlrev_b64_e32 v[6:7], 3, v[4:5]
	v_mov_b64_e32 v[96:97], v[4:5]
	v_add_nc_u64_e32 v[4:5], v[52:53], v[6:7]
	v_add_nc_u64_e32 v[6:7], v[26:27], v[6:7]
	s_wait_loadcnt 0x1
	s_delay_alu instid0(VALU_DEP_3)
	v_mov_b64_e32 v[118:119], v[96:97]
	s_branch .LBB32_133
.LBB32_132:                             ;   in Loop: Header=BB32_133 Depth=2
	s_or_b32 exec_lo, exec_lo, s15
	s_xor_b32 s15, s13, -1
	s_and_b32 s16, exec_lo, s14
	s_delay_alu instid0(SALU_CYCLE_1) | instskip(SKIP_2) | instid1(SALU_CYCLE_1)
	s_or_b32 s12, s16, s12
	s_and_not1_b32 s11, s11, exec_lo
	s_and_b32 s15, s15, exec_lo
	s_or_b32 s11, s11, s15
	s_and_not1_b32 exec_lo, exec_lo, s12
	s_cbranch_execz .LBB32_135
.LBB32_133:                             ;   Parent Loop BB32_8 Depth=1
                                        ; =>  This Inner Loop Header: Depth=2
	s_delay_alu instid0(VALU_DEP_2)
	v_mov_b64_e32 v[114:115], v[6:7]
	flat_load_b64 v[6:7], v[6:7]
	flat_load_b128 v[40:43], v[4:5] offset:-8
	v_mov_b64_e32 v[112:113], v[118:119]
	s_or_b32 s13, s13, exec_lo
	s_or_b32 s14, s14, exec_lo
	s_wait_loadcnt_dscnt 0x0
	v_cmp_gt_f64_e64 s15, 0x10000000, |v[40:41]|
	s_delay_alu instid0(VALU_DEP_1) | instskip(NEXT) | instid1(VALU_DEP_1)
	v_cndmask_b32_e64 v35, 0, 0x100, s15
	v_ldexp_f64 v[118:119], |v[40:41]|, v35
	v_cndmask_b32_e64 v35, 0, 0xffffff80, s15
	v_cmp_gt_f64_e64 s15, 0x10000000, |v[42:43]|
	s_delay_alu instid0(VALU_DEP_3) | instskip(SKIP_1) | instid1(TRANS32_DEP_1)
	v_rsq_f64_e32 v[40:41], v[118:119]
	v_cmp_class_f64_e64 vcc_lo, v[118:119], 0x260
	v_mul_f64_e32 v[44:45], v[118:119], v[40:41]
	v_mul_f64_e32 v[40:41], 0.5, v[40:41]
	s_delay_alu instid0(VALU_DEP_1) | instskip(NEXT) | instid1(VALU_DEP_1)
	v_fma_f64 v[46:47], -v[40:41], v[44:45], 0.5
	v_fmac_f64_e32 v[44:45], v[44:45], v[46:47]
	v_fmac_f64_e32 v[40:41], v[40:41], v[46:47]
	s_delay_alu instid0(VALU_DEP_2) | instskip(NEXT) | instid1(VALU_DEP_1)
	v_fma_f64 v[56:57], -v[44:45], v[44:45], v[118:119]
	v_fmac_f64_e32 v[44:45], v[56:57], v[40:41]
	s_delay_alu instid0(VALU_DEP_1) | instskip(NEXT) | instid1(VALU_DEP_1)
	v_fma_f64 v[46:47], -v[44:45], v[44:45], v[118:119]
	v_fmac_f64_e32 v[44:45], v[46:47], v[40:41]
	s_delay_alu instid0(VALU_DEP_1) | instskip(SKIP_1) | instid1(VALU_DEP_2)
	v_ldexp_f64 v[40:41], v[44:45], v35
	v_cndmask_b32_e64 v35, 0, 0x100, s15
	v_dual_cndmask_b32 v119, v41, v119 :: v_dual_cndmask_b32 v118, v40, v118
	s_delay_alu instid0(VALU_DEP_2) | instskip(SKIP_1) | instid1(VALU_DEP_2)
	v_ldexp_f64 v[40:41], |v[42:43]|, v35
	v_cndmask_b32_e64 v35, 0, 0xffffff80, s15
	v_rsq_f64_e32 v[42:43], v[40:41]
	v_cmp_class_f64_e64 vcc_lo, v[40:41], 0x260
	s_delay_alu instid0(TRANS32_DEP_1) | instskip(SKIP_1) | instid1(VALU_DEP_1)
	v_mul_f64_e32 v[44:45], v[40:41], v[42:43]
	v_mul_f64_e32 v[42:43], 0.5, v[42:43]
	v_fma_f64 v[46:47], -v[42:43], v[44:45], 0.5
	s_delay_alu instid0(VALU_DEP_1) | instskip(SKIP_1) | instid1(VALU_DEP_2)
	v_fmac_f64_e32 v[44:45], v[44:45], v[46:47]
	v_fmac_f64_e32 v[42:43], v[42:43], v[46:47]
	v_fma_f64 v[56:57], -v[44:45], v[44:45], v[40:41]
	s_delay_alu instid0(VALU_DEP_1) | instskip(NEXT) | instid1(VALU_DEP_1)
	v_fmac_f64_e32 v[44:45], v[56:57], v[42:43]
	v_fma_f64 v[46:47], -v[44:45], v[44:45], v[40:41]
	s_delay_alu instid0(VALU_DEP_1) | instskip(NEXT) | instid1(VALU_DEP_1)
	v_fmac_f64_e32 v[44:45], v[46:47], v[42:43]
	v_ldexp_f64 v[42:43], v[44:45], v35
	s_delay_alu instid0(VALU_DEP_1) | instskip(NEXT) | instid1(VALU_DEP_1)
	v_dual_cndmask_b32 v41, v43, v41 :: v_dual_cndmask_b32 v40, v42, v40
	v_mul_f64_e32 v[118:119], v[118:119], v[40:41]
	s_delay_alu instid0(VALU_DEP_1) | instskip(NEXT) | instid1(VALU_DEP_1)
	v_mul_f64_e32 v[118:119], v[32:33], v[118:119]
	v_cmp_nle_f64_e64 s16, |v[6:7]|, v[118:119]
                                        ; implicit-def: $vgpr118_vgpr119
                                        ; implicit-def: $vgpr6_vgpr7
	s_wait_xcnt 0x0
	s_and_saveexec_b32 s15, s16
	s_cbranch_execz .LBB32_132
; %bb.134:                              ;   in Loop: Header=BB32_133 Depth=2
	v_add_nc_u64_e32 v[118:119], 1, v[112:113]
	v_add_nc_u64_e32 v[4:5], 8, v[4:5]
	;; [unrolled: 1-line block ×3, first 2 shown]
	s_and_not1_b32 s14, s14, exec_lo
	s_and_not1_b32 s13, s13, exec_lo
	s_delay_alu instid0(VALU_DEP_3) | instskip(SKIP_1) | instid1(SALU_CYCLE_1)
	v_cmp_ge_i32_e32 vcc_lo, v118, v34
	s_and_b32 s16, vcc_lo, exec_lo
	s_or_b32 s14, s14, s16
	s_branch .LBB32_132
.LBB32_135:                             ;   in Loop: Header=BB32_8 Depth=1
	s_or_b32 exec_lo, exec_lo, s12
	s_mov_b32 s12, -1
	s_mov_b32 s13, s5
                                        ; implicit-def: $vgpr6_vgpr7
	s_and_saveexec_b32 s14, s11
	s_delay_alu instid0(SALU_CYCLE_1)
	s_xor_b32 s11, exec_lo, s14
; %bb.136:                              ;   in Loop: Header=BB32_8 Depth=1
	v_ashrrev_i32_e32 v35, 31, v34
	s_xor_b32 s12, exec_lo, -1
	s_or_b32 s13, s5, exec_lo
	s_delay_alu instid0(VALU_DEP_1)
	v_mov_b64_e32 v[6:7], v[34:35]
; %bb.137:                              ;   in Loop: Header=BB32_8 Depth=1
	s_or_b32 exec_lo, exec_lo, s11
	v_mov_b64_e32 v[4:5], v[96:97]
	v_mov_b32_e32 v42, v34
	s_and_not1_b32 s5, s5, exec_lo
	s_and_b32 s13, s13, exec_lo
	s_and_b32 s11, s12, exec_lo
	s_or_b32 s5, s5, s13
	s_or_b32 exec_lo, exec_lo, s10
	s_and_saveexec_b32 s10, s5
	s_cbranch_execz .LBB32_17
.LBB32_138:                             ;   in Loop: Header=BB32_8 Depth=1
	s_wait_loadcnt 0x0
	global_load_b32 v35, v[20:21], off offset:4
	s_wait_loadcnt 0x0
	ds_store_b32 v35, v42
	s_wait_xcnt 0x0
	s_or_b32 exec_lo, exec_lo, s10
	s_and_saveexec_b32 s5, s11
	s_cbranch_execnz .LBB32_18
	s_branch .LBB32_19
.LBB32_139:                             ;   in Loop: Header=BB32_8 Depth=1
	s_or_b32 exec_lo, exec_lo, s13
.LBB32_140:                             ;   in Loop: Header=BB32_8 Depth=1
	s_delay_alu instid0(SALU_CYCLE_1)
	s_or_b32 exec_lo, exec_lo, s12
                                        ; implicit-def: $vgpr35
                                        ; implicit-def: $vgpr42
                                        ; implicit-def: $vgpr40
                                        ; implicit-def: $vgpr58
.LBB32_141:                             ;   in Loop: Header=BB32_8 Depth=1
	s_and_not1_saveexec_b32 s5, s11
	s_cbranch_execz .LBB32_232
; %bb.142:                              ;   in Loop: Header=BB32_8 Depth=1
	s_and_saveexec_b32 s11, s4
	s_cbranch_execz .LBB32_231
; %bb.143:                              ;   in Loop: Header=BB32_8 Depth=1
	s_mov_b32 s12, 0
	s_branch .LBB32_146
.LBB32_144:                             ;   in Loop: Header=BB32_146 Depth=2
	s_or_b32 exec_lo, exec_lo, s14
	s_wait_storecnt_dscnt 0x0
	s_barrier_signal -1
	s_barrier_wait -1
	ds_load_b32 v40, v35
.LBB32_145:                             ;   in Loop: Header=BB32_146 Depth=2
	s_or_b32 exec_lo, exec_lo, s13
	ds_load_b32 v42, v118
	ds_load_b32 v58, v91
	s_wait_dscnt 0x1
	v_cmp_lt_i32_e32 vcc_lo, v40, v42
	s_wait_dscnt 0x0
	v_cmp_ge_i32_e64 s4, v58, v14
	s_or_b32 s4, vcc_lo, s4
	s_delay_alu instid0(SALU_CYCLE_1) | instskip(NEXT) | instid1(SALU_CYCLE_1)
	s_and_b32 s4, exec_lo, s4
	s_or_b32 s12, s4, s12
	s_delay_alu instid0(SALU_CYCLE_1)
	s_and_not1_b32 exec_lo, exec_lo, s12
	s_cbranch_execz .LBB32_230
.LBB32_146:                             ;   Parent Loop BB32_8 Depth=1
                                        ; =>  This Loop Header: Depth=2
                                        ;       Child Loop BB32_183 Depth 3
                                        ;       Child Loop BB32_168 Depth 3
	;; [unrolled: 1-line block ×3, first 2 shown]
                                        ;         Child Loop BB32_227 Depth 4
                                        ; implicit-def: $vgpr36
	s_and_saveexec_b32 s4, s0
	s_delay_alu instid0(SALU_CYCLE_1)
	s_xor_b32 s4, exec_lo, s4
	s_cbranch_execz .LBB32_148
; %bb.147:                              ;   in Loop: Header=BB32_146 Depth=2
	global_load_b32 v36, v[20:21], off offset:4
                                        ; implicit-def: $vgpr40
                                        ; implicit-def: $vgpr42
                                        ; implicit-def: $vgpr58
.LBB32_148:                             ;   in Loop: Header=BB32_146 Depth=2
	s_wait_xcnt 0x0
	s_and_not1_saveexec_b32 s13, s4
	s_cbranch_execz .LBB32_221
; %bb.149:                              ;   in Loop: Header=BB32_146 Depth=2
	v_ashrrev_i32_e32 v41, 31, v40
	s_mov_b32 s16, 0
	s_mov_b32 s4, 0
	s_mov_b32 s14, exec_lo
                                        ; implicit-def: $vgpr44_vgpr45
	v_cmpx_le_i32_e64 v40, v42
	s_xor_b32 s14, exec_lo, s14
	s_cbranch_execnz .LBB32_180
; %bb.150:                              ;   in Loop: Header=BB32_146 Depth=2
	s_or_saveexec_b32 s14, s14
	v_mov_b32_e32 v4, v40
	s_xor_b32 exec_lo, exec_lo, s14
	s_cbranch_execnz .LBB32_181
.LBB32_151:                             ;   in Loop: Header=BB32_146 Depth=2
	s_or_b32 exec_lo, exec_lo, s14
                                        ; implicit-def: $vgpr36
	s_and_saveexec_b32 s14, s4
	s_cbranch_execnz .LBB32_186
.LBB32_152:                             ;   in Loop: Header=BB32_146 Depth=2
	s_or_b32 exec_lo, exec_lo, s14
	s_and_saveexec_b32 s4, s16
	s_cbranch_execz .LBB32_154
.LBB32_153:                             ;   in Loop: Header=BB32_146 Depth=2
	s_wait_loadcnt 0x0
	s_clause 0x1
	global_load_b32 v36, v[20:21], off offset:4
	global_load_b32 v5, v[20:21], off offset:16
	v_mov_b64_e32 v[44:45], v[100:101]
	v_mov_b32_e32 v4, v92
	s_wait_loadcnt 0x1
	ds_store_b32 v36, v92
	s_wait_loadcnt 0x0
	ds_store_b32 v5, v40
	flat_store_b64 v[98:99], v[86:87]
.LBB32_154:                             ;   in Loop: Header=BB32_146 Depth=2
	s_wait_xcnt 0x0
	s_or_b32 exec_lo, exec_lo, s4
	v_lshl_add_u64 v[42:43], v[44:45], 3, v[18:19]
	v_add_nc_u32_e32 v5, -1, v40
	s_mov_b32 s4, exec_lo
	flat_load_b64 v[6:7], v[42:43]
	global_load_b32 v41, v[20:21], off offset:8
	s_wait_loadcnt_dscnt 0x0
	ds_store_b64 v41, v[6:7]
	s_wait_xcnt 0x0
	v_cmpx_ne_u32_e64 v4, v40
	s_xor_b32 s14, exec_lo, s4
	s_cbranch_execz .LBB32_218
; %bb.155:                              ;   in Loop: Header=BB32_146 Depth=2
	v_cmp_ne_u32_e32 vcc_lo, v4, v5
	v_lshl_add_u64 v[44:45], v[44:45], 3, v[26:27]
	v_ashrrev_i32_e32 v5, 31, v4
	s_and_saveexec_b32 s4, vcc_lo
	s_delay_alu instid0(SALU_CYCLE_1)
	s_xor_b32 s4, exec_lo, s4
	s_cbranch_execz .LBB32_190
; %bb.156:                              ;   in Loop: Header=BB32_146 Depth=2
	flat_load_b64 v[46:47], v[42:43] offset:-8
	flat_load_b64 v[60:61], v[44:45] offset:-8
	v_lshl_add_u64 v[56:57], v[4:5], 3, v[18:19]
	s_mov_b32 s15, exec_lo
	v_add_nc_u32_e32 v58, 1, v58
	flat_load_b64 v[62:63], v[56:57]
	ds_store_b32 v91, v58
	ds_store_b64 v41, v[86:87]
	s_wait_loadcnt_dscnt 0x204
	v_add_f64_e64 v[46:47], v[46:47], -v[6:7]
	s_wait_loadcnt_dscnt 0x103
	v_add_f64_e32 v[72:73], v[60:61], v[60:61]
	s_wait_loadcnt_dscnt 0x2
	v_add_f64_e64 v[6:7], v[62:63], -v[6:7]
	s_delay_alu instid0(VALU_DEP_2) | instskip(SKIP_1) | instid1(VALU_DEP_2)
	v_div_scale_f64 v[74:75], null, v[72:73], v[72:73], v[46:47]
	v_div_scale_f64 v[88:89], vcc_lo, v[46:47], v[72:73], v[46:47]
	v_rcp_f64_e32 v[76:77], v[74:75]
	v_nop
	s_delay_alu instid0(TRANS32_DEP_1) | instskip(NEXT) | instid1(VALU_DEP_1)
	v_fma_f64 v[78:79], -v[74:75], v[76:77], 1.0
	v_fmac_f64_e32 v[76:77], v[76:77], v[78:79]
	s_delay_alu instid0(VALU_DEP_1) | instskip(NEXT) | instid1(VALU_DEP_1)
	v_fma_f64 v[78:79], -v[74:75], v[76:77], 1.0
	v_fmac_f64_e32 v[76:77], v[76:77], v[78:79]
	s_delay_alu instid0(VALU_DEP_1) | instskip(NEXT) | instid1(VALU_DEP_1)
	v_mul_f64_e32 v[78:79], v[88:89], v[76:77]
	v_fma_f64 v[74:75], -v[74:75], v[78:79], v[88:89]
	s_delay_alu instid0(VALU_DEP_1) | instskip(NEXT) | instid1(VALU_DEP_1)
	v_div_fmas_f64 v[74:75], v[74:75], v[76:77], v[78:79]
	v_div_fixup_f64 v[46:47], v[74:75], v[72:73], v[46:47]
	s_delay_alu instid0(VALU_DEP_1) | instskip(NEXT) | instid1(VALU_DEP_1)
	v_fma_f64 v[72:73], v[46:47], v[46:47], 1.0
	v_cmp_gt_f64_e32 vcc_lo, 0x10000000, v[72:73]
	v_cndmask_b32_e64 v59, 0, 0x100, vcc_lo
	s_delay_alu instid0(VALU_DEP_1) | instskip(SKIP_1) | instid1(VALU_DEP_2)
	v_ldexp_f64 v[72:73], v[72:73], v59
	v_cndmask_b32_e64 v59, 0, 0xffffff80, vcc_lo
	v_rsq_f64_e32 v[74:75], v[72:73]
	v_cmp_class_f64_e64 vcc_lo, v[72:73], 0x260
	s_delay_alu instid0(TRANS32_DEP_1) | instskip(SKIP_1) | instid1(VALU_DEP_1)
	v_mul_f64_e32 v[76:77], v[72:73], v[74:75]
	v_mul_f64_e32 v[74:75], 0.5, v[74:75]
	v_fma_f64 v[78:79], -v[74:75], v[76:77], 0.5
	s_delay_alu instid0(VALU_DEP_1) | instskip(SKIP_1) | instid1(VALU_DEP_2)
	v_fmac_f64_e32 v[76:77], v[76:77], v[78:79]
	v_fmac_f64_e32 v[74:75], v[74:75], v[78:79]
	v_fma_f64 v[78:79], -v[76:77], v[76:77], v[72:73]
	s_delay_alu instid0(VALU_DEP_1) | instskip(NEXT) | instid1(VALU_DEP_1)
	v_fmac_f64_e32 v[76:77], v[78:79], v[74:75]
	v_fma_f64 v[78:79], -v[76:77], v[76:77], v[72:73]
	s_delay_alu instid0(VALU_DEP_1) | instskip(NEXT) | instid1(VALU_DEP_1)
	v_fmac_f64_e32 v[76:77], v[78:79], v[74:75]
	v_ldexp_f64 v[74:75], v[76:77], v59
	s_delay_alu instid0(VALU_DEP_1) | instskip(NEXT) | instid1(VALU_DEP_1)
	v_cndmask_b32_e32 v59, v75, v73, vcc_lo
	v_and_b32_e32 v73, 0x7fffffff, v59
	v_or_b32_e32 v59, 0x80000000, v59
	s_delay_alu instid0(VALU_DEP_4) | instskip(SKIP_1) | instid1(VALU_DEP_3)
	v_cndmask_b32_e32 v72, v74, v72, vcc_lo
	v_cmp_nle_f64_e32 vcc_lo, 0, v[46:47]
	v_cndmask_b32_e32 v73, v73, v59, vcc_lo
	s_delay_alu instid0(VALU_DEP_1) | instskip(NEXT) | instid1(VALU_DEP_1)
	v_add_f64_e32 v[46:47], v[46:47], v[72:73]
	v_div_scale_f64 v[72:73], null, v[46:47], v[46:47], v[60:61]
	s_delay_alu instid0(VALU_DEP_1) | instskip(SKIP_1) | instid1(TRANS32_DEP_1)
	v_rcp_f64_e32 v[74:75], v[72:73]
	v_nop
	v_fma_f64 v[76:77], -v[72:73], v[74:75], 1.0
	s_delay_alu instid0(VALU_DEP_1) | instskip(NEXT) | instid1(VALU_DEP_1)
	v_fmac_f64_e32 v[74:75], v[74:75], v[76:77]
	v_fma_f64 v[76:77], -v[72:73], v[74:75], 1.0
	s_delay_alu instid0(VALU_DEP_1) | instskip(SKIP_1) | instid1(VALU_DEP_1)
	v_fmac_f64_e32 v[74:75], v[74:75], v[76:77]
	v_div_scale_f64 v[76:77], vcc_lo, v[60:61], v[46:47], v[60:61]
	v_mul_f64_e32 v[78:79], v[76:77], v[74:75]
	s_delay_alu instid0(VALU_DEP_1) | instskip(NEXT) | instid1(VALU_DEP_1)
	v_fma_f64 v[72:73], -v[72:73], v[78:79], v[76:77]
	v_div_fmas_f64 v[72:73], v[72:73], v[74:75], v[78:79]
	s_delay_alu instid0(VALU_DEP_1) | instskip(NEXT) | instid1(VALU_DEP_1)
	v_div_fixup_f64 v[46:47], v[72:73], v[46:47], v[60:61]
	v_add_f64_e32 v[6:7], v[6:7], v[46:47]
	v_mov_b64_e32 v[46:47], 0
	s_wait_xcnt 0x0
	v_cmpx_lt_i32_e64 v4, v40
	s_cbranch_execz .LBB32_189
; %bb.157:                              ;   in Loop: Header=BB32_146 Depth=2
	v_lshl_add_u64 v[46:47], v[4:5], 3, v[26:27]
	v_mov_b64_e32 v[60:61], 0
	s_mov_b32 s16, exec_lo
	flat_load_b64 v[58:59], v[46:47]
	s_wait_xcnt 0x0
	v_mov_b64_e32 v[46:47], 1.0
	s_wait_loadcnt_dscnt 0x0
	v_cmpx_neq_f64_e32 0, v[58:59]
	s_cbranch_execz .LBB32_165
; %bb.158:                              ;   in Loop: Header=BB32_146 Depth=2
	v_mov_b64_e32 v[46:47], 0
	v_mov_b64_e32 v[60:61], 1.0
	s_mov_b32 s17, exec_lo
	v_cmpx_neq_f64_e32 0, v[6:7]
	s_cbranch_execz .LBB32_164
; %bb.159:                              ;   in Loop: Header=BB32_146 Depth=2
	v_cmp_ngt_f64_e64 s18, |v[58:59]|, |v[6:7]|
                                        ; implicit-def: $vgpr60_vgpr61
                                        ; implicit-def: $vgpr46_vgpr47
	s_and_saveexec_b32 s19, s18
	s_delay_alu instid0(SALU_CYCLE_1)
	s_xor_b32 s18, exec_lo, s19
	s_cbranch_execz .LBB32_161
; %bb.160:                              ;   in Loop: Header=BB32_146 Depth=2
	v_div_scale_f64 v[46:47], null, v[6:7], v[6:7], -v[58:59]
	v_div_scale_f64 v[72:73], vcc_lo, -v[58:59], v[6:7], -v[58:59]
	s_delay_alu instid0(VALU_DEP_2) | instskip(SKIP_1) | instid1(TRANS32_DEP_1)
	v_rcp_f64_e32 v[60:61], v[46:47]
	v_nop
	v_fma_f64 v[62:63], -v[46:47], v[60:61], 1.0
	s_delay_alu instid0(VALU_DEP_1) | instskip(NEXT) | instid1(VALU_DEP_1)
	v_fmac_f64_e32 v[60:61], v[60:61], v[62:63]
	v_fma_f64 v[62:63], -v[46:47], v[60:61], 1.0
	s_delay_alu instid0(VALU_DEP_1) | instskip(NEXT) | instid1(VALU_DEP_1)
	v_fmac_f64_e32 v[60:61], v[60:61], v[62:63]
	v_mul_f64_e32 v[62:63], v[72:73], v[60:61]
	s_delay_alu instid0(VALU_DEP_1) | instskip(NEXT) | instid1(VALU_DEP_1)
	v_fma_f64 v[46:47], -v[46:47], v[62:63], v[72:73]
	v_div_fmas_f64 v[46:47], v[46:47], v[60:61], v[62:63]
	s_delay_alu instid0(VALU_DEP_1) | instskip(NEXT) | instid1(VALU_DEP_1)
	v_div_fixup_f64 v[6:7], v[46:47], v[6:7], -v[58:59]
	v_fma_f64 v[46:47], v[6:7], v[6:7], 1.0
	s_delay_alu instid0(VALU_DEP_1) | instskip(SKIP_1) | instid1(VALU_DEP_1)
	v_cmp_gt_f64_e32 vcc_lo, 0x10000000, v[46:47]
	v_cndmask_b32_e64 v60, 0, 0x100, vcc_lo
	v_ldexp_f64 v[46:47], v[46:47], v60
	s_delay_alu instid0(VALU_DEP_1) | instskip(SKIP_1) | instid1(TRANS32_DEP_1)
	v_rsq_f64_e32 v[60:61], v[46:47]
	v_nop
	v_mul_f64_e32 v[62:63], v[46:47], v[60:61]
	v_mul_f64_e32 v[60:61], 0.5, v[60:61]
	s_delay_alu instid0(VALU_DEP_1) | instskip(NEXT) | instid1(VALU_DEP_1)
	v_fma_f64 v[72:73], -v[60:61], v[62:63], 0.5
	v_fmac_f64_e32 v[62:63], v[62:63], v[72:73]
	v_fmac_f64_e32 v[60:61], v[60:61], v[72:73]
	s_delay_alu instid0(VALU_DEP_2) | instskip(NEXT) | instid1(VALU_DEP_1)
	v_fma_f64 v[72:73], -v[62:63], v[62:63], v[46:47]
	v_fmac_f64_e32 v[62:63], v[72:73], v[60:61]
	s_delay_alu instid0(VALU_DEP_1) | instskip(NEXT) | instid1(VALU_DEP_1)
	v_fma_f64 v[72:73], -v[62:63], v[62:63], v[46:47]
	v_fmac_f64_e32 v[62:63], v[72:73], v[60:61]
	v_cndmask_b32_e64 v60, 0, 0xffffff80, vcc_lo
	v_cmp_class_f64_e64 vcc_lo, v[46:47], 0x260
	s_delay_alu instid0(VALU_DEP_2) | instskip(NEXT) | instid1(VALU_DEP_1)
	v_ldexp_f64 v[60:61], v[62:63], v60
	v_dual_cndmask_b32 v47, v61, v47 :: v_dual_cndmask_b32 v46, v60, v46
	s_delay_alu instid0(VALU_DEP_1) | instskip(NEXT) | instid1(VALU_DEP_1)
	v_div_scale_f64 v[60:61], null, v[46:47], v[46:47], 1.0
	v_rcp_f64_e32 v[62:63], v[60:61]
	v_nop
	s_delay_alu instid0(TRANS32_DEP_1) | instskip(NEXT) | instid1(VALU_DEP_1)
	v_fma_f64 v[72:73], -v[60:61], v[62:63], 1.0
	v_fmac_f64_e32 v[62:63], v[62:63], v[72:73]
	s_delay_alu instid0(VALU_DEP_1) | instskip(NEXT) | instid1(VALU_DEP_1)
	v_fma_f64 v[72:73], -v[60:61], v[62:63], 1.0
	v_fmac_f64_e32 v[62:63], v[62:63], v[72:73]
	v_div_scale_f64 v[72:73], vcc_lo, 1.0, v[46:47], 1.0
	s_delay_alu instid0(VALU_DEP_1) | instskip(NEXT) | instid1(VALU_DEP_1)
	v_mul_f64_e32 v[74:75], v[72:73], v[62:63]
	v_fma_f64 v[60:61], -v[60:61], v[74:75], v[72:73]
	s_delay_alu instid0(VALU_DEP_1) | instskip(NEXT) | instid1(VALU_DEP_1)
	v_div_fmas_f64 v[60:61], v[60:61], v[62:63], v[74:75]
	v_div_fixup_f64 v[46:47], v[60:61], v[46:47], 1.0
	s_delay_alu instid0(VALU_DEP_1)
	v_mul_f64_e32 v[60:61], v[6:7], v[46:47]
                                        ; implicit-def: $vgpr6_vgpr7
.LBB32_161:                             ;   in Loop: Header=BB32_146 Depth=2
	s_and_not1_saveexec_b32 s18, s18
	s_cbranch_execz .LBB32_163
; %bb.162:                              ;   in Loop: Header=BB32_146 Depth=2
	v_div_scale_f64 v[46:47], null, v[58:59], v[58:59], -v[6:7]
	v_div_scale_f64 v[72:73], vcc_lo, -v[6:7], v[58:59], -v[6:7]
	s_delay_alu instid0(VALU_DEP_2) | instskip(SKIP_1) | instid1(TRANS32_DEP_1)
	v_rcp_f64_e32 v[60:61], v[46:47]
	v_nop
	v_fma_f64 v[62:63], -v[46:47], v[60:61], 1.0
	s_delay_alu instid0(VALU_DEP_1) | instskip(NEXT) | instid1(VALU_DEP_1)
	v_fmac_f64_e32 v[60:61], v[60:61], v[62:63]
	v_fma_f64 v[62:63], -v[46:47], v[60:61], 1.0
	s_delay_alu instid0(VALU_DEP_1) | instskip(NEXT) | instid1(VALU_DEP_1)
	v_fmac_f64_e32 v[60:61], v[60:61], v[62:63]
	v_mul_f64_e32 v[62:63], v[72:73], v[60:61]
	s_delay_alu instid0(VALU_DEP_1) | instskip(NEXT) | instid1(VALU_DEP_1)
	v_fma_f64 v[46:47], -v[46:47], v[62:63], v[72:73]
	v_div_fmas_f64 v[46:47], v[46:47], v[60:61], v[62:63]
	s_delay_alu instid0(VALU_DEP_1) | instskip(NEXT) | instid1(VALU_DEP_1)
	v_div_fixup_f64 v[6:7], v[46:47], v[58:59], -v[6:7]
	v_fma_f64 v[46:47], v[6:7], v[6:7], 1.0
	s_delay_alu instid0(VALU_DEP_1) | instskip(SKIP_1) | instid1(VALU_DEP_1)
	v_cmp_gt_f64_e32 vcc_lo, 0x10000000, v[46:47]
	v_cndmask_b32_e64 v60, 0, 0x100, vcc_lo
	v_ldexp_f64 v[46:47], v[46:47], v60
	s_delay_alu instid0(VALU_DEP_1) | instskip(SKIP_1) | instid1(TRANS32_DEP_1)
	v_rsq_f64_e32 v[60:61], v[46:47]
	v_nop
	v_mul_f64_e32 v[62:63], v[46:47], v[60:61]
	v_mul_f64_e32 v[60:61], 0.5, v[60:61]
	s_delay_alu instid0(VALU_DEP_1) | instskip(NEXT) | instid1(VALU_DEP_1)
	v_fma_f64 v[72:73], -v[60:61], v[62:63], 0.5
	v_fmac_f64_e32 v[62:63], v[62:63], v[72:73]
	v_fmac_f64_e32 v[60:61], v[60:61], v[72:73]
	s_delay_alu instid0(VALU_DEP_2) | instskip(NEXT) | instid1(VALU_DEP_1)
	v_fma_f64 v[72:73], -v[62:63], v[62:63], v[46:47]
	v_fmac_f64_e32 v[62:63], v[72:73], v[60:61]
	s_delay_alu instid0(VALU_DEP_1) | instskip(NEXT) | instid1(VALU_DEP_1)
	v_fma_f64 v[72:73], -v[62:63], v[62:63], v[46:47]
	v_fmac_f64_e32 v[62:63], v[72:73], v[60:61]
	v_cndmask_b32_e64 v60, 0, 0xffffff80, vcc_lo
	v_cmp_class_f64_e64 vcc_lo, v[46:47], 0x260
	s_delay_alu instid0(VALU_DEP_2) | instskip(NEXT) | instid1(VALU_DEP_1)
	v_ldexp_f64 v[60:61], v[62:63], v60
	v_dual_cndmask_b32 v47, v61, v47 :: v_dual_cndmask_b32 v46, v60, v46
	s_delay_alu instid0(VALU_DEP_1) | instskip(NEXT) | instid1(VALU_DEP_1)
	v_div_scale_f64 v[60:61], null, v[46:47], v[46:47], 1.0
	v_rcp_f64_e32 v[62:63], v[60:61]
	v_nop
	s_delay_alu instid0(TRANS32_DEP_1) | instskip(NEXT) | instid1(VALU_DEP_1)
	v_fma_f64 v[72:73], -v[60:61], v[62:63], 1.0
	v_fmac_f64_e32 v[62:63], v[62:63], v[72:73]
	s_delay_alu instid0(VALU_DEP_1) | instskip(NEXT) | instid1(VALU_DEP_1)
	v_fma_f64 v[72:73], -v[60:61], v[62:63], 1.0
	v_fmac_f64_e32 v[62:63], v[62:63], v[72:73]
	v_div_scale_f64 v[72:73], vcc_lo, 1.0, v[46:47], 1.0
	s_delay_alu instid0(VALU_DEP_1) | instskip(NEXT) | instid1(VALU_DEP_1)
	v_mul_f64_e32 v[74:75], v[72:73], v[62:63]
	v_fma_f64 v[60:61], -v[60:61], v[74:75], v[72:73]
	s_delay_alu instid0(VALU_DEP_1) | instskip(NEXT) | instid1(VALU_DEP_1)
	v_div_fmas_f64 v[60:61], v[60:61], v[62:63], v[74:75]
	v_div_fixup_f64 v[60:61], v[60:61], v[46:47], 1.0
	s_delay_alu instid0(VALU_DEP_1)
	v_mul_f64_e32 v[46:47], v[6:7], v[60:61]
.LBB32_163:                             ;   in Loop: Header=BB32_146 Depth=2
	s_or_b32 exec_lo, exec_lo, s18
.LBB32_164:                             ;   in Loop: Header=BB32_146 Depth=2
	s_delay_alu instid0(SALU_CYCLE_1)
	s_or_b32 exec_lo, exec_lo, s17
.LBB32_165:                             ;   in Loop: Header=BB32_146 Depth=2
	s_delay_alu instid0(SALU_CYCLE_1)
	s_or_b32 exec_lo, exec_lo, s16
	flat_load_b128 v[72:75], v[56:57]
	v_add_f64_e32 v[62:63], v[46:47], v[46:47]
	v_xor_b32_e32 v77, 0x80000000, v61
	s_mov_b32 s16, exec_lo
	s_wait_loadcnt_dscnt 0x0
	v_dual_add_f64 v[6:7], v[74:75], -v[72:73] :: v_dual_mov_b32 v76, v60
	v_lshl_add_u64 v[74:75], v[4:5], 3, v[12:13]
	s_delay_alu instid0(VALU_DEP_2) | instskip(NEXT) | instid1(VALU_DEP_1)
	v_mul_f64_e32 v[6:7], v[60:61], v[6:7]
	v_fma_f64 v[6:7], v[58:59], v[62:63], -v[6:7]
	s_delay_alu instid0(VALU_DEP_1)
	v_mul_f64_e64 v[62:63], v[6:7], -v[60:61]
	v_fma_f64 v[72:73], v[6:7], -v[60:61], v[72:73]
	v_dual_fma_f64 v[6:7], v[46:47], v[6:7], -v[58:59] :: v_dual_add_nc_u32 v58, 1, v4
	v_lshl_add_u64 v[60:61], v[2:3], 3, v[74:75]
	ds_store_b64 v41, v[62:63]
	flat_store_b64 v[56:57], v[72:73]
	s_clause 0x1
	flat_store_b64 v[74:75], v[46:47]
	flat_store_b64 v[60:61], v[76:77] offset:-8
	s_wait_xcnt 0x0
	v_cmpx_lt_i32_e64 v58, v40
	s_cbranch_execz .LBB32_188
; %bb.166:                              ;   in Loop: Header=BB32_146 Depth=2
	v_ashrrev_i32_e32 v59, 31, v58
	s_mov_b32 s18, 1
	s_mov_b32 s17, 0
	s_delay_alu instid0(VALU_DEP_1) | instskip(NEXT) | instid1(VALU_DEP_1)
	v_lshlrev_b64_e32 v[60:61], 3, v[58:59]
	v_add_nc_u64_e32 v[56:57], v[12:13], v[60:61]
	v_add_nc_u64_e32 v[58:59], v[52:53], v[60:61]
	;; [unrolled: 1-line block ×3, first 2 shown]
	s_branch .LBB32_168
.LBB32_167:                             ;   in Loop: Header=BB32_168 Depth=3
	flat_load_b128 v[104:107], v[58:59] offset:-8
	s_wait_xcnt 0x1
	ds_load_b64 v[6:7], v41
	s_add_co_i32 s18, s18, 1
	v_mul_f64_e32 v[46:47], v[46:47], v[62:63]
	v_add_f64_e32 v[62:63], v[74:75], v[74:75]
	v_add_nc_u64_e32 v[60:61], 8, v[60:61]
	v_add_nc_u32_e32 v5, s18, v4
	s_delay_alu instid0(VALU_DEP_1) | instskip(SKIP_3) | instid1(VALU_DEP_1)
	v_cmp_ge_i32_e32 vcc_lo, v5, v40
	s_or_b32 s17, vcc_lo, s17
	s_wait_loadcnt_dscnt 0x0
	v_add_f64_e64 v[6:7], v[104:105], -v[6:7]
	v_add_f64_e64 v[72:73], v[106:107], -v[6:7]
	s_delay_alu instid0(VALU_DEP_1) | instskip(NEXT) | instid1(VALU_DEP_1)
	v_mul_f64_e32 v[72:73], v[76:77], v[72:73]
	v_fma_f64 v[62:63], v[46:47], v[62:63], -v[72:73]
	s_delay_alu instid0(VALU_DEP_1)
	v_mul_f64_e64 v[72:73], v[62:63], -v[76:77]
	v_fma_f64 v[78:79], v[62:63], -v[76:77], v[6:7]
	v_fma_f64 v[6:7], v[74:75], v[62:63], -v[46:47]
	v_add_nc_u64_e32 v[62:63], v[56:57], v[50:51]
	v_mov_b64_e32 v[46:47], v[74:75]
	v_xor_b32_e32 v77, 0x80000000, v77
	ds_store_b64 v41, v[72:73]
	flat_store_b64 v[58:59], v[78:79] offset:-8
	flat_store_b64 v[56:57], v[74:75]
	s_wait_xcnt 0x0
	v_add_nc_u64_e32 v[56:57], 8, v[56:57]
	v_add_nc_u64_e32 v[58:59], 8, v[58:59]
	flat_store_b64 v[62:63], v[76:77]
	s_wait_xcnt 0x0
	s_and_not1_b32 exec_lo, exec_lo, s17
	s_cbranch_execz .LBB32_187
.LBB32_168:                             ;   Parent Loop BB32_8 Depth=1
                                        ;     Parent Loop BB32_146 Depth=2
                                        ; =>    This Inner Loop Header: Depth=3
	flat_load_b64 v[62:63], v[60:61] offset:8
	v_mov_b64_e32 v[74:75], 1.0
	s_mov_b32 s19, exec_lo
	s_wait_loadcnt_dscnt 0x0
	v_mul_f64_e32 v[72:73], v[76:77], v[62:63]
	v_mov_b64_e32 v[76:77], 0
	s_wait_xcnt 0x0
	s_delay_alu instid0(VALU_DEP_2)
	v_cmpx_neq_f64_e32 0, v[72:73]
	s_cbranch_execz .LBB32_178
; %bb.169:                              ;   in Loop: Header=BB32_168 Depth=3
	v_xor_b32_e32 v79, 0x80000000, v73
	v_mov_b32_e32 v78, v72
	s_mov_b32 s20, exec_lo
                                        ; implicit-def: $vgpr76_vgpr77
                                        ; implicit-def: $vgpr74_vgpr75
	v_cmpx_neq_f64_e32 0, v[6:7]
	s_xor_b32 s20, exec_lo, s20
	s_cbranch_execz .LBB32_175
; %bb.170:                              ;   in Loop: Header=BB32_168 Depth=3
	v_cmp_ngt_f64_e64 s21, |v[72:73]|, |v[6:7]|
                                        ; implicit-def: $vgpr76_vgpr77
                                        ; implicit-def: $vgpr74_vgpr75
	s_and_saveexec_b32 s22, s21
	s_delay_alu instid0(SALU_CYCLE_1)
	s_xor_b32 s21, exec_lo, s22
	s_cbranch_execz .LBB32_172
; %bb.171:                              ;   in Loop: Header=BB32_168 Depth=3
	v_div_scale_f64 v[74:75], null, v[6:7], v[6:7], -v[72:73]
	v_div_scale_f64 v[88:89], vcc_lo, -v[72:73], v[6:7], -v[72:73]
	s_delay_alu instid0(VALU_DEP_2) | instskip(SKIP_1) | instid1(TRANS32_DEP_1)
	v_rcp_f64_e32 v[76:77], v[74:75]
	v_nop
	v_fma_f64 v[78:79], -v[74:75], v[76:77], 1.0
	s_delay_alu instid0(VALU_DEP_1) | instskip(NEXT) | instid1(VALU_DEP_1)
	v_fmac_f64_e32 v[76:77], v[76:77], v[78:79]
	v_fma_f64 v[78:79], -v[74:75], v[76:77], 1.0
	s_delay_alu instid0(VALU_DEP_1) | instskip(NEXT) | instid1(VALU_DEP_1)
	v_fmac_f64_e32 v[76:77], v[76:77], v[78:79]
	v_mul_f64_e32 v[78:79], v[88:89], v[76:77]
	s_delay_alu instid0(VALU_DEP_1) | instskip(NEXT) | instid1(VALU_DEP_1)
	v_fma_f64 v[74:75], -v[74:75], v[78:79], v[88:89]
	v_div_fmas_f64 v[74:75], v[74:75], v[76:77], v[78:79]
	s_delay_alu instid0(VALU_DEP_1) | instskip(NEXT) | instid1(VALU_DEP_1)
	v_div_fixup_f64 v[76:77], v[74:75], v[6:7], -v[72:73]
	v_fma_f64 v[74:75], v[76:77], v[76:77], 1.0
	s_delay_alu instid0(VALU_DEP_1) | instskip(SKIP_1) | instid1(VALU_DEP_1)
	v_cmp_gt_f64_e32 vcc_lo, 0x10000000, v[74:75]
	v_cndmask_b32_e64 v5, 0, 0x100, vcc_lo
	v_ldexp_f64 v[74:75], v[74:75], v5
	v_cndmask_b32_e64 v5, 0, 0xffffff80, vcc_lo
	s_delay_alu instid0(VALU_DEP_2) | instskip(SKIP_1) | instid1(TRANS32_DEP_1)
	v_rsq_f64_e32 v[78:79], v[74:75]
	v_cmp_class_f64_e64 vcc_lo, v[74:75], 0x260
	v_mul_f64_e32 v[88:89], v[74:75], v[78:79]
	v_mul_f64_e32 v[78:79], 0.5, v[78:79]
	s_delay_alu instid0(VALU_DEP_1) | instskip(NEXT) | instid1(VALU_DEP_1)
	v_fma_f64 v[94:95], -v[78:79], v[88:89], 0.5
	v_fmac_f64_e32 v[88:89], v[88:89], v[94:95]
	v_fmac_f64_e32 v[78:79], v[78:79], v[94:95]
	s_delay_alu instid0(VALU_DEP_2) | instskip(NEXT) | instid1(VALU_DEP_1)
	v_fma_f64 v[94:95], -v[88:89], v[88:89], v[74:75]
	v_fmac_f64_e32 v[88:89], v[94:95], v[78:79]
	s_delay_alu instid0(VALU_DEP_1) | instskip(NEXT) | instid1(VALU_DEP_1)
	v_fma_f64 v[94:95], -v[88:89], v[88:89], v[74:75]
	v_fmac_f64_e32 v[88:89], v[94:95], v[78:79]
	s_delay_alu instid0(VALU_DEP_1) | instskip(NEXT) | instid1(VALU_DEP_1)
	v_ldexp_f64 v[78:79], v[88:89], v5
	v_dual_cndmask_b32 v75, v79, v75 :: v_dual_cndmask_b32 v74, v78, v74
	s_delay_alu instid0(VALU_DEP_1) | instskip(NEXT) | instid1(VALU_DEP_1)
	v_div_scale_f64 v[78:79], null, v[74:75], v[74:75], 1.0
	v_rcp_f64_e32 v[88:89], v[78:79]
	v_nop
	s_delay_alu instid0(TRANS32_DEP_1) | instskip(NEXT) | instid1(VALU_DEP_1)
	v_fma_f64 v[94:95], -v[78:79], v[88:89], 1.0
	v_fmac_f64_e32 v[88:89], v[88:89], v[94:95]
	s_delay_alu instid0(VALU_DEP_1) | instskip(NEXT) | instid1(VALU_DEP_1)
	v_fma_f64 v[94:95], -v[78:79], v[88:89], 1.0
	v_fmac_f64_e32 v[88:89], v[88:89], v[94:95]
	v_div_scale_f64 v[94:95], vcc_lo, 1.0, v[74:75], 1.0
	s_delay_alu instid0(VALU_DEP_1) | instskip(NEXT) | instid1(VALU_DEP_1)
	v_mul_f64_e32 v[104:105], v[94:95], v[88:89]
	v_fma_f64 v[78:79], -v[78:79], v[104:105], v[94:95]
	s_delay_alu instid0(VALU_DEP_1) | instskip(NEXT) | instid1(VALU_DEP_1)
	v_div_fmas_f64 v[78:79], v[78:79], v[88:89], v[104:105]
	v_div_fixup_f64 v[74:75], v[78:79], v[74:75], 1.0
	s_delay_alu instid0(VALU_DEP_1)
	v_mul_f64_e32 v[76:77], v[76:77], v[74:75]
.LBB32_172:                             ;   in Loop: Header=BB32_168 Depth=3
	s_and_not1_saveexec_b32 s21, s21
	s_cbranch_execz .LBB32_174
; %bb.173:                              ;   in Loop: Header=BB32_168 Depth=3
	v_div_scale_f64 v[74:75], null, v[72:73], v[72:73], -v[6:7]
	v_div_scale_f64 v[88:89], vcc_lo, -v[6:7], v[72:73], -v[6:7]
	s_delay_alu instid0(VALU_DEP_2) | instskip(SKIP_1) | instid1(TRANS32_DEP_1)
	v_rcp_f64_e32 v[76:77], v[74:75]
	v_nop
	v_fma_f64 v[78:79], -v[74:75], v[76:77], 1.0
	s_delay_alu instid0(VALU_DEP_1) | instskip(NEXT) | instid1(VALU_DEP_1)
	v_fmac_f64_e32 v[76:77], v[76:77], v[78:79]
	v_fma_f64 v[78:79], -v[74:75], v[76:77], 1.0
	s_delay_alu instid0(VALU_DEP_1) | instskip(NEXT) | instid1(VALU_DEP_1)
	v_fmac_f64_e32 v[76:77], v[76:77], v[78:79]
	v_mul_f64_e32 v[78:79], v[88:89], v[76:77]
	s_delay_alu instid0(VALU_DEP_1) | instskip(NEXT) | instid1(VALU_DEP_1)
	v_fma_f64 v[74:75], -v[74:75], v[78:79], v[88:89]
	v_div_fmas_f64 v[74:75], v[74:75], v[76:77], v[78:79]
	s_delay_alu instid0(VALU_DEP_1) | instskip(NEXT) | instid1(VALU_DEP_1)
	v_div_fixup_f64 v[74:75], v[74:75], v[72:73], -v[6:7]
	v_fma_f64 v[76:77], v[74:75], v[74:75], 1.0
	s_delay_alu instid0(VALU_DEP_1) | instskip(SKIP_1) | instid1(VALU_DEP_1)
	v_cmp_gt_f64_e32 vcc_lo, 0x10000000, v[76:77]
	v_cndmask_b32_e64 v5, 0, 0x100, vcc_lo
	v_ldexp_f64 v[76:77], v[76:77], v5
	v_cndmask_b32_e64 v5, 0, 0xffffff80, vcc_lo
	s_delay_alu instid0(VALU_DEP_2) | instskip(SKIP_1) | instid1(TRANS32_DEP_1)
	v_rsq_f64_e32 v[78:79], v[76:77]
	v_cmp_class_f64_e64 vcc_lo, v[76:77], 0x260
	v_mul_f64_e32 v[88:89], v[76:77], v[78:79]
	v_mul_f64_e32 v[78:79], 0.5, v[78:79]
	s_delay_alu instid0(VALU_DEP_1) | instskip(NEXT) | instid1(VALU_DEP_1)
	v_fma_f64 v[94:95], -v[78:79], v[88:89], 0.5
	v_fmac_f64_e32 v[88:89], v[88:89], v[94:95]
	v_fmac_f64_e32 v[78:79], v[78:79], v[94:95]
	s_delay_alu instid0(VALU_DEP_2) | instskip(NEXT) | instid1(VALU_DEP_1)
	v_fma_f64 v[94:95], -v[88:89], v[88:89], v[76:77]
	v_fmac_f64_e32 v[88:89], v[94:95], v[78:79]
	s_delay_alu instid0(VALU_DEP_1) | instskip(NEXT) | instid1(VALU_DEP_1)
	v_fma_f64 v[94:95], -v[88:89], v[88:89], v[76:77]
	v_fmac_f64_e32 v[88:89], v[94:95], v[78:79]
	s_delay_alu instid0(VALU_DEP_1) | instskip(NEXT) | instid1(VALU_DEP_1)
	v_ldexp_f64 v[78:79], v[88:89], v5
	v_dual_cndmask_b32 v77, v79, v77 :: v_dual_cndmask_b32 v76, v78, v76
	s_delay_alu instid0(VALU_DEP_1) | instskip(NEXT) | instid1(VALU_DEP_1)
	v_div_scale_f64 v[78:79], null, v[76:77], v[76:77], 1.0
	v_rcp_f64_e32 v[88:89], v[78:79]
	v_nop
	s_delay_alu instid0(TRANS32_DEP_1) | instskip(NEXT) | instid1(VALU_DEP_1)
	v_fma_f64 v[94:95], -v[78:79], v[88:89], 1.0
	v_fmac_f64_e32 v[88:89], v[88:89], v[94:95]
	s_delay_alu instid0(VALU_DEP_1) | instskip(NEXT) | instid1(VALU_DEP_1)
	v_fma_f64 v[94:95], -v[78:79], v[88:89], 1.0
	v_fmac_f64_e32 v[88:89], v[88:89], v[94:95]
	v_div_scale_f64 v[94:95], vcc_lo, 1.0, v[76:77], 1.0
	s_delay_alu instid0(VALU_DEP_1) | instskip(NEXT) | instid1(VALU_DEP_1)
	v_mul_f64_e32 v[104:105], v[94:95], v[88:89]
	v_fma_f64 v[78:79], -v[78:79], v[104:105], v[94:95]
	s_delay_alu instid0(VALU_DEP_1) | instskip(NEXT) | instid1(VALU_DEP_1)
	v_div_fmas_f64 v[78:79], v[78:79], v[88:89], v[104:105]
	v_div_fixup_f64 v[76:77], v[78:79], v[76:77], 1.0
	s_delay_alu instid0(VALU_DEP_1)
	v_mul_f64_e32 v[74:75], v[74:75], v[76:77]
.LBB32_174:                             ;   in Loop: Header=BB32_168 Depth=3
	s_or_b32 exec_lo, exec_lo, s21
	s_delay_alu instid0(VALU_DEP_1) | instskip(NEXT) | instid1(VALU_DEP_1)
	v_mul_f64_e32 v[72:73], v[72:73], v[76:77]
	v_fma_f64 v[78:79], v[6:7], v[74:75], -v[72:73]
.LBB32_175:                             ;   in Loop: Header=BB32_168 Depth=3
	s_and_not1_saveexec_b32 s20, s20
; %bb.176:                              ;   in Loop: Header=BB32_168 Depth=3
	v_mov_b64_e32 v[74:75], 0
	v_mov_b64_e32 v[76:77], 1.0
; %bb.177:                              ;   in Loop: Header=BB32_168 Depth=3
	s_or_b32 exec_lo, exec_lo, s20
	s_delay_alu instid0(VALU_DEP_3)
	v_mov_b64_e32 v[6:7], v[78:79]
.LBB32_178:                             ;   in Loop: Header=BB32_168 Depth=3
	s_or_b32 exec_lo, exec_lo, s19
	s_cmp_eq_u32 s18, 0
	s_cbranch_scc1 .LBB32_167
; %bb.179:                              ;   in Loop: Header=BB32_168 Depth=3
	flat_store_b64 v[60:61], v[6:7]
	s_branch .LBB32_167
.LBB32_180:                             ;   in Loop: Header=BB32_146 Depth=2
	v_mov_b64_e32 v[44:45], v[40:41]
	s_mov_b32 s4, exec_lo
                                        ; implicit-def: $vgpr42
	s_or_saveexec_b32 s14, s14
	v_mov_b32_e32 v4, v40
	s_xor_b32 exec_lo, exec_lo, s14
	s_cbranch_execz .LBB32_151
.LBB32_181:                             ;   in Loop: Header=BB32_146 Depth=2
	v_lshlrev_b64_e32 v[6:7], 3, v[40:41]
	v_mov_b64_e32 v[100:101], v[40:41]
                                        ; implicit-def: $sgpr15
                                        ; implicit-def: $sgpr18
                                        ; implicit-def: $sgpr17
	s_delay_alu instid0(VALU_DEP_2)
	v_add_nc_u64_e32 v[4:5], v[68:69], v[6:7]
	v_add_nc_u64_e32 v[98:99], v[26:27], v[6:7]
	v_mov_b32_e32 v6, v40
	s_branch .LBB32_183
.LBB32_182:                             ;   in Loop: Header=BB32_183 Depth=3
	s_or_b32 exec_lo, exec_lo, s19
	s_xor_b32 s19, s17, -1
	s_and_b32 s20, exec_lo, s18
	v_add_nc_u64_e32 v[98:99], -8, v[98:99]
	s_or_b32 s16, s20, s16
	s_and_not1_b32 s15, s15, exec_lo
	s_and_b32 s19, s19, exec_lo
	s_delay_alu instid0(SALU_CYCLE_1)
	s_or_b32 s15, s15, s19
	s_and_not1_b32 exec_lo, exec_lo, s16
	s_cbranch_execz .LBB32_185
.LBB32_183:                             ;   Parent Loop BB32_8 Depth=1
                                        ;     Parent Loop BB32_146 Depth=2
                                        ; =>    This Inner Loop Header: Depth=3
	flat_load_b128 v[44:47], v[4:5]
	flat_load_b64 v[56:57], v[98:99] offset:-8
	s_or_b32 s17, s17, exec_lo
	s_or_b32 s18, s18, exec_lo
	s_mov_b32 s19, exec_lo
	v_mov_b32_e32 v92, v6
                                        ; implicit-def: $vgpr6
	s_wait_loadcnt_dscnt 0x101
	v_mul_f64_e32 v[44:45], v[46:47], v[44:45]
	s_wait_loadcnt_dscnt 0x0
	v_mul_f64_e32 v[46:47], v[56:57], v[56:57]
	s_delay_alu instid0(VALU_DEP_2) | instskip(NEXT) | instid1(VALU_DEP_1)
	v_mul_f64_e64 v[44:45], v[38:39], |v[44:45]|
	v_cmpx_nle_f64_e64 |v[46:47]|, v[44:45]
	s_cbranch_execz .LBB32_182
; %bb.184:                              ;   in Loop: Header=BB32_183 Depth=3
	v_add_nc_u32_e32 v6, -1, v92
	v_add_nc_u64_e32 v[4:5], -8, v[4:5]
	s_and_not1_b32 s18, s18, exec_lo
	s_and_not1_b32 s17, s17, exec_lo
	s_delay_alu instid0(VALU_DEP_2) | instskip(SKIP_1) | instid1(SALU_CYCLE_1)
	v_cmp_le_i32_e32 vcc_lo, v6, v42
	s_and_b32 s20, vcc_lo, exec_lo
	s_or_b32 s18, s18, s20
	s_branch .LBB32_182
.LBB32_185:                             ;   in Loop: Header=BB32_146 Depth=2
	s_or_b32 exec_lo, exec_lo, s16
	v_mov_b64_e32 v[44:45], v[100:101]
	v_mov_b32_e32 v4, v42
	s_and_not1_b32 s4, s4, exec_lo
	s_and_b32 s15, s15, exec_lo
	s_mov_b32 s16, exec_lo
	s_or_b32 s4, s4, s15
	s_or_b32 exec_lo, exec_lo, s14
                                        ; implicit-def: $vgpr36
	s_and_saveexec_b32 s14, s4
	s_cbranch_execz .LBB32_152
.LBB32_186:                             ;   in Loop: Header=BB32_146 Depth=2
	s_wait_loadcnt 0x0
	s_clause 0x1
	global_load_b32 v36, v[20:21], off offset:4
	global_load_b32 v5, v[20:21], off offset:16
	s_and_not1_b32 s16, s16, exec_lo
	s_wait_loadcnt 0x1
	ds_store_b32 v36, v4
	s_wait_loadcnt 0x0
	ds_store_b32 v5, v40
	s_or_b32 exec_lo, exec_lo, s14
	s_and_saveexec_b32 s4, s16
	s_cbranch_execnz .LBB32_153
	s_branch .LBB32_154
.LBB32_187:                             ;   in Loop: Header=BB32_146 Depth=2
	s_or_b32 exec_lo, exec_lo, s17
.LBB32_188:                             ;   in Loop: Header=BB32_146 Depth=2
	s_delay_alu instid0(SALU_CYCLE_1)
	s_or_b32 exec_lo, exec_lo, s16
	ds_load_b64 v[46:47], v41
.LBB32_189:                             ;   in Loop: Header=BB32_146 Depth=2
	s_or_b32 exec_lo, exec_lo, s15
	flat_load_b64 v[4:5], v[42:43]
                                        ; implicit-def: $vgpr40
	s_wait_loadcnt_dscnt 0x0
	v_add_f64_e64 v[4:5], v[4:5], -v[46:47]
	flat_store_b64 v[42:43], v[4:5]
	flat_store_b64 v[44:45], v[6:7] offset:-8
                                        ; implicit-def: $vgpr42_vgpr43
                                        ; implicit-def: $vgpr44_vgpr45
                                        ; implicit-def: $vgpr6_vgpr7
                                        ; implicit-def: $vgpr4
.LBB32_190:                             ;   in Loop: Header=BB32_146 Depth=2
	s_wait_xcnt 0x0
	s_and_not1_saveexec_b32 s15, s4
	s_cbranch_execz .LBB32_229
; %bb.191:                              ;   in Loop: Header=BB32_146 Depth=2
	v_lshlrev_b64_e32 v[46:47], 3, v[4:5]
                                        ; implicit-def: $vgpr62_vgpr63
	s_delay_alu instid0(VALU_DEP_1)
	v_add_nc_u64_e32 v[4:5], v[18:19], v[46:47]
	v_add_nc_u64_e32 v[56:57], v[26:27], v[46:47]
	flat_load_b64 v[4:5], v[4:5]
	flat_load_b64 v[60:61], v[56:57]
	s_wait_loadcnt_dscnt 0x101
	v_add_f64_e64 v[58:59], v[4:5], -v[6:7]
	s_wait_loadcnt_dscnt 0x0
	v_add_f64_e32 v[56:57], v[60:61], v[60:61]
	s_delay_alu instid0(VALU_DEP_1) | instskip(SKIP_1) | instid1(SALU_CYCLE_1)
	v_cmp_ngt_f64_e64 s4, |v[58:59]|, |v[56:57]|
	s_and_saveexec_b32 s16, s4
	s_xor_b32 s4, exec_lo, s16
	s_cbranch_execz .LBB32_197
; %bb.192:                              ;   in Loop: Header=BB32_146 Depth=2
	v_cmp_nlt_f64_e64 s16, |v[58:59]|, |v[56:57]|
                                        ; implicit-def: $vgpr62_vgpr63
	s_and_saveexec_b32 s17, s16
	s_delay_alu instid0(SALU_CYCLE_1)
	s_xor_b32 s16, exec_lo, s17
; %bb.193:                              ;   in Loop: Header=BB32_146 Depth=2
	v_mul_f64_e64 v[62:63], |v[56:57]|, s[6:7]
; %bb.194:                              ;   in Loop: Header=BB32_146 Depth=2
	s_and_not1_saveexec_b32 s16, s16
	s_cbranch_execz .LBB32_196
; %bb.195:                              ;   in Loop: Header=BB32_146 Depth=2
	v_and_b32_e32 v63, 0x7fffffff, v59
	v_dual_mov_b32 v62, v58 :: v_dual_mov_b32 v72, v56
	v_and_b32_e32 v73, 0x7fffffff, v57
	s_delay_alu instid0(VALU_DEP_1) | instskip(SKIP_1) | instid1(VALU_DEP_2)
	v_div_scale_f64 v[74:75], null, v[72:73], v[72:73], v[62:63]
	v_div_scale_f64 v[62:63], vcc_lo, v[62:63], v[72:73], v[62:63]
	v_rcp_f64_e32 v[76:77], v[74:75]
	v_nop
	s_delay_alu instid0(TRANS32_DEP_1) | instskip(NEXT) | instid1(VALU_DEP_1)
	v_fma_f64 v[78:79], -v[74:75], v[76:77], 1.0
	v_fmac_f64_e32 v[76:77], v[76:77], v[78:79]
	s_delay_alu instid0(VALU_DEP_1) | instskip(NEXT) | instid1(VALU_DEP_1)
	v_fma_f64 v[78:79], -v[74:75], v[76:77], 1.0
	v_fmac_f64_e32 v[76:77], v[76:77], v[78:79]
	s_delay_alu instid0(VALU_DEP_1) | instskip(NEXT) | instid1(VALU_DEP_1)
	v_mul_f64_e32 v[72:73], v[62:63], v[76:77]
	v_fma_f64 v[62:63], -v[74:75], v[72:73], v[62:63]
	s_delay_alu instid0(VALU_DEP_1) | instskip(NEXT) | instid1(VALU_DEP_1)
	v_div_fmas_f64 v[62:63], v[62:63], v[76:77], v[72:73]
	v_div_fixup_f64 v[62:63], v[62:63], |v[56:57]|, |v[58:59]|
	s_delay_alu instid0(VALU_DEP_1) | instskip(NEXT) | instid1(VALU_DEP_1)
	v_fma_f64 v[62:63], v[62:63], v[62:63], 1.0
	v_cmp_gt_f64_e32 vcc_lo, 0x10000000, v[62:63]
	v_cndmask_b32_e64 v41, 0, 0x100, vcc_lo
	s_delay_alu instid0(VALU_DEP_1) | instskip(SKIP_1) | instid1(VALU_DEP_2)
	v_ldexp_f64 v[62:63], v[62:63], v41
	v_cndmask_b32_e64 v41, 0, 0xffffff80, vcc_lo
	v_rsq_f64_e32 v[72:73], v[62:63]
	v_cmp_class_f64_e64 vcc_lo, v[62:63], 0x260
	s_delay_alu instid0(TRANS32_DEP_1) | instskip(SKIP_1) | instid1(VALU_DEP_1)
	v_mul_f64_e32 v[74:75], v[62:63], v[72:73]
	v_mul_f64_e32 v[72:73], 0.5, v[72:73]
	v_fma_f64 v[76:77], -v[72:73], v[74:75], 0.5
	s_delay_alu instid0(VALU_DEP_1) | instskip(SKIP_1) | instid1(VALU_DEP_2)
	v_fmac_f64_e32 v[74:75], v[74:75], v[76:77]
	v_fmac_f64_e32 v[72:73], v[72:73], v[76:77]
	v_fma_f64 v[76:77], -v[74:75], v[74:75], v[62:63]
	s_delay_alu instid0(VALU_DEP_1) | instskip(NEXT) | instid1(VALU_DEP_1)
	v_fmac_f64_e32 v[74:75], v[76:77], v[72:73]
	v_fma_f64 v[76:77], -v[74:75], v[74:75], v[62:63]
	s_delay_alu instid0(VALU_DEP_1) | instskip(NEXT) | instid1(VALU_DEP_1)
	v_fmac_f64_e32 v[74:75], v[76:77], v[72:73]
	v_ldexp_f64 v[72:73], v[74:75], v41
	s_delay_alu instid0(VALU_DEP_1) | instskip(NEXT) | instid1(VALU_DEP_1)
	v_dual_cndmask_b32 v63, v73, v63 :: v_dual_cndmask_b32 v62, v72, v62
	v_mul_f64_e64 v[62:63], |v[56:57]|, v[62:63]
.LBB32_196:                             ;   in Loop: Header=BB32_146 Depth=2
	s_or_b32 exec_lo, exec_lo, s16
.LBB32_197:                             ;   in Loop: Header=BB32_146 Depth=2
	s_and_not1_saveexec_b32 s4, s4
	s_cbranch_execz .LBB32_199
; %bb.198:                              ;   in Loop: Header=BB32_146 Depth=2
	v_and_b32_e32 v63, 0x7fffffff, v57
	v_dual_mov_b32 v62, v56 :: v_dual_mov_b32 v72, v58
	v_and_b32_e32 v73, 0x7fffffff, v59
	s_delay_alu instid0(VALU_DEP_1) | instskip(SKIP_1) | instid1(VALU_DEP_2)
	v_div_scale_f64 v[74:75], null, v[72:73], v[72:73], v[62:63]
	v_div_scale_f64 v[62:63], vcc_lo, v[62:63], v[72:73], v[62:63]
	v_rcp_f64_e32 v[76:77], v[74:75]
	v_nop
	s_delay_alu instid0(TRANS32_DEP_1) | instskip(NEXT) | instid1(VALU_DEP_1)
	v_fma_f64 v[78:79], -v[74:75], v[76:77], 1.0
	v_fmac_f64_e32 v[76:77], v[76:77], v[78:79]
	s_delay_alu instid0(VALU_DEP_1) | instskip(NEXT) | instid1(VALU_DEP_1)
	v_fma_f64 v[78:79], -v[74:75], v[76:77], 1.0
	v_fmac_f64_e32 v[76:77], v[76:77], v[78:79]
	s_delay_alu instid0(VALU_DEP_1) | instskip(NEXT) | instid1(VALU_DEP_1)
	v_mul_f64_e32 v[72:73], v[62:63], v[76:77]
	v_fma_f64 v[62:63], -v[74:75], v[72:73], v[62:63]
	s_delay_alu instid0(VALU_DEP_1) | instskip(NEXT) | instid1(VALU_DEP_1)
	v_div_fmas_f64 v[62:63], v[62:63], v[76:77], v[72:73]
	v_div_fixup_f64 v[62:63], v[62:63], |v[58:59]|, |v[56:57]|
	s_delay_alu instid0(VALU_DEP_1) | instskip(NEXT) | instid1(VALU_DEP_1)
	v_fma_f64 v[62:63], v[62:63], v[62:63], 1.0
	v_cmp_gt_f64_e32 vcc_lo, 0x10000000, v[62:63]
	v_cndmask_b32_e64 v41, 0, 0x100, vcc_lo
	s_delay_alu instid0(VALU_DEP_1) | instskip(SKIP_1) | instid1(VALU_DEP_2)
	v_ldexp_f64 v[62:63], v[62:63], v41
	v_cndmask_b32_e64 v41, 0, 0xffffff80, vcc_lo
	v_rsq_f64_e32 v[72:73], v[62:63]
	v_cmp_class_f64_e64 vcc_lo, v[62:63], 0x260
	s_delay_alu instid0(TRANS32_DEP_1) | instskip(SKIP_1) | instid1(VALU_DEP_1)
	v_mul_f64_e32 v[74:75], v[62:63], v[72:73]
	v_mul_f64_e32 v[72:73], 0.5, v[72:73]
	v_fma_f64 v[76:77], -v[72:73], v[74:75], 0.5
	s_delay_alu instid0(VALU_DEP_1) | instskip(SKIP_1) | instid1(VALU_DEP_2)
	v_fmac_f64_e32 v[74:75], v[74:75], v[76:77]
	v_fmac_f64_e32 v[72:73], v[72:73], v[76:77]
	v_fma_f64 v[76:77], -v[74:75], v[74:75], v[62:63]
	s_delay_alu instid0(VALU_DEP_1) | instskip(NEXT) | instid1(VALU_DEP_1)
	v_fmac_f64_e32 v[74:75], v[76:77], v[72:73]
	v_fma_f64 v[76:77], -v[74:75], v[74:75], v[62:63]
	s_delay_alu instid0(VALU_DEP_1) | instskip(NEXT) | instid1(VALU_DEP_1)
	v_fmac_f64_e32 v[74:75], v[76:77], v[72:73]
	v_ldexp_f64 v[72:73], v[74:75], v41
	s_delay_alu instid0(VALU_DEP_1) | instskip(NEXT) | instid1(VALU_DEP_1)
	v_dual_cndmask_b32 v63, v73, v63 :: v_dual_cndmask_b32 v62, v72, v62
	v_mul_f64_e64 v[62:63], |v[58:59]|, v[62:63]
.LBB32_199:                             ;   in Loop: Header=BB32_146 Depth=2
	s_or_b32 exec_lo, exec_lo, s4
	v_cmp_gt_f64_e64 vcc_lo, |v[4:5]|, |v[6:7]|
	v_add_f64_e32 v[76:77], v[4:5], v[6:7]
	s_mov_b32 s16, exec_lo
	v_dual_cndmask_b32 v73, v5, v7 :: v_dual_cndmask_b32 v72, v4, v6
	v_dual_cndmask_b32 v75, v7, v5 :: v_dual_cndmask_b32 v74, v6, v4
                                        ; implicit-def: $vgpr6_vgpr7
	s_delay_alu instid0(VALU_DEP_3)
	v_cmpx_ngt_f64_e32 0, v[76:77]
	s_xor_b32 s16, exec_lo, s16
	s_cbranch_execz .LBB32_205
; %bb.200:                              ;   in Loop: Header=BB32_146 Depth=2
	s_mov_b32 s4, exec_lo
                                        ; implicit-def: $vgpr6_vgpr7
	v_cmpx_nlt_f64_e32 0, v[76:77]
	s_xor_b32 s4, exec_lo, s4
	s_cbranch_execz .LBB32_202
; %bb.201:                              ;   in Loop: Header=BB32_146 Depth=2
	v_mul_f64_e32 v[4:5], 0.5, v[62:63]
	v_mul_f64_e32 v[6:7], -0.5, v[62:63]
                                        ; implicit-def: $vgpr76_vgpr77
                                        ; implicit-def: $vgpr74_vgpr75
                                        ; implicit-def: $vgpr60_vgpr61
                                        ; implicit-def: $vgpr72_vgpr73
.LBB32_202:                             ;   in Loop: Header=BB32_146 Depth=2
	s_and_not1_saveexec_b32 s17, s4
	s_cbranch_execz .LBB32_204
; %bb.203:                              ;   in Loop: Header=BB32_146 Depth=2
	v_add_f64_e32 v[4:5], v[76:77], v[62:63]
	s_delay_alu instid0(VALU_DEP_1) | instskip(NEXT) | instid1(VALU_DEP_1)
	v_mul_f64_e32 v[4:5], 0.5, v[4:5]
	v_div_scale_f64 v[6:7], null, v[4:5], v[4:5], v[74:75]
	v_div_scale_f64 v[76:77], null, v[4:5], v[4:5], v[60:61]
	v_div_scale_f64 v[106:107], vcc_lo, v[74:75], v[4:5], v[74:75]
	s_delay_alu instid0(VALU_DEP_3) | instskip(NEXT) | instid1(VALU_DEP_2)
	v_rcp_f64_e32 v[78:79], v[6:7]
	v_rcp_f64_e32 v[88:89], v[76:77]
	s_delay_alu instid0(TRANS32_DEP_2) | instskip(NEXT) | instid1(TRANS32_DEP_1)
	v_fma_f64 v[94:95], -v[6:7], v[78:79], 1.0
	v_fma_f64 v[104:105], -v[76:77], v[88:89], 1.0
	s_delay_alu instid0(VALU_DEP_2) | instskip(NEXT) | instid1(VALU_DEP_2)
	v_fmac_f64_e32 v[78:79], v[78:79], v[94:95]
	v_fmac_f64_e32 v[88:89], v[88:89], v[104:105]
	s_delay_alu instid0(VALU_DEP_2) | instskip(NEXT) | instid1(VALU_DEP_2)
	v_fma_f64 v[94:95], -v[6:7], v[78:79], 1.0
	v_fma_f64 v[104:105], -v[76:77], v[88:89], 1.0
	s_delay_alu instid0(VALU_DEP_2) | instskip(SKIP_1) | instid1(VALU_DEP_3)
	v_fmac_f64_e32 v[78:79], v[78:79], v[94:95]
	v_div_scale_f64 v[94:95], s4, v[60:61], v[4:5], v[60:61]
	v_fmac_f64_e32 v[88:89], v[88:89], v[104:105]
	s_delay_alu instid0(VALU_DEP_3) | instskip(NEXT) | instid1(VALU_DEP_2)
	v_mul_f64_e32 v[104:105], v[106:107], v[78:79]
	v_mul_f64_e32 v[108:109], v[94:95], v[88:89]
	s_delay_alu instid0(VALU_DEP_2) | instskip(NEXT) | instid1(VALU_DEP_2)
	v_fma_f64 v[6:7], -v[6:7], v[104:105], v[106:107]
	v_fma_f64 v[76:77], -v[76:77], v[108:109], v[94:95]
	s_delay_alu instid0(VALU_DEP_2) | instskip(SKIP_1) | instid1(VALU_DEP_2)
	v_div_fmas_f64 v[6:7], v[6:7], v[78:79], v[104:105]
	s_mov_b32 vcc_lo, s4
	v_div_fmas_f64 v[76:77], v[76:77], v[88:89], v[108:109]
	s_delay_alu instid0(VALU_DEP_2) | instskip(NEXT) | instid1(VALU_DEP_2)
	v_div_fixup_f64 v[6:7], v[6:7], v[4:5], v[74:75]
	v_div_fixup_f64 v[76:77], v[76:77], v[4:5], v[60:61]
	s_delay_alu instid0(VALU_DEP_1) | instskip(NEXT) | instid1(VALU_DEP_1)
	v_mul_f64_e32 v[60:61], v[60:61], v[76:77]
	v_fma_f64 v[6:7], v[72:73], v[6:7], -v[60:61]
.LBB32_204:                             ;   in Loop: Header=BB32_146 Depth=2
	s_or_b32 exec_lo, exec_lo, s17
                                        ; implicit-def: $vgpr76_vgpr77
                                        ; implicit-def: $vgpr74_vgpr75
                                        ; implicit-def: $vgpr60_vgpr61
                                        ; implicit-def: $vgpr72_vgpr73
.LBB32_205:                             ;   in Loop: Header=BB32_146 Depth=2
	s_or_saveexec_b32 s16, s16
	v_mov_b32_e32 v41, 1
	s_xor_b32 exec_lo, exec_lo, s16
	s_cbranch_execz .LBB32_207
; %bb.206:                              ;   in Loop: Header=BB32_146 Depth=2
	v_dual_add_f64 v[4:5], v[76:77], -v[62:63] :: v_dual_mov_b32 v41, -1
	s_delay_alu instid0(VALU_DEP_1) | instskip(NEXT) | instid1(VALU_DEP_1)
	v_mul_f64_e32 v[4:5], 0.5, v[4:5]
	v_div_scale_f64 v[6:7], null, v[4:5], v[4:5], v[74:75]
	v_div_scale_f64 v[76:77], null, v[4:5], v[4:5], v[60:61]
	v_div_scale_f64 v[106:107], vcc_lo, v[74:75], v[4:5], v[74:75]
	s_delay_alu instid0(VALU_DEP_3) | instskip(NEXT) | instid1(VALU_DEP_2)
	v_rcp_f64_e32 v[78:79], v[6:7]
	v_rcp_f64_e32 v[88:89], v[76:77]
	s_delay_alu instid0(TRANS32_DEP_2) | instskip(NEXT) | instid1(TRANS32_DEP_1)
	v_fma_f64 v[94:95], -v[6:7], v[78:79], 1.0
	v_fma_f64 v[104:105], -v[76:77], v[88:89], 1.0
	s_delay_alu instid0(VALU_DEP_2) | instskip(NEXT) | instid1(VALU_DEP_2)
	v_fmac_f64_e32 v[78:79], v[78:79], v[94:95]
	v_fmac_f64_e32 v[88:89], v[88:89], v[104:105]
	s_delay_alu instid0(VALU_DEP_2) | instskip(NEXT) | instid1(VALU_DEP_2)
	v_fma_f64 v[94:95], -v[6:7], v[78:79], 1.0
	v_fma_f64 v[104:105], -v[76:77], v[88:89], 1.0
	s_delay_alu instid0(VALU_DEP_2) | instskip(SKIP_1) | instid1(VALU_DEP_3)
	v_fmac_f64_e32 v[78:79], v[78:79], v[94:95]
	v_div_scale_f64 v[94:95], s4, v[60:61], v[4:5], v[60:61]
	v_fmac_f64_e32 v[88:89], v[88:89], v[104:105]
	s_delay_alu instid0(VALU_DEP_3) | instskip(NEXT) | instid1(VALU_DEP_2)
	v_mul_f64_e32 v[104:105], v[106:107], v[78:79]
	v_mul_f64_e32 v[108:109], v[94:95], v[88:89]
	s_delay_alu instid0(VALU_DEP_2) | instskip(NEXT) | instid1(VALU_DEP_2)
	v_fma_f64 v[6:7], -v[6:7], v[104:105], v[106:107]
	v_fma_f64 v[76:77], -v[76:77], v[108:109], v[94:95]
	s_delay_alu instid0(VALU_DEP_2) | instskip(SKIP_1) | instid1(VALU_DEP_2)
	v_div_fmas_f64 v[6:7], v[6:7], v[78:79], v[104:105]
	s_mov_b32 vcc_lo, s4
	v_div_fmas_f64 v[76:77], v[76:77], v[88:89], v[108:109]
	s_delay_alu instid0(VALU_DEP_2) | instskip(NEXT) | instid1(VALU_DEP_2)
	v_div_fixup_f64 v[6:7], v[6:7], v[4:5], v[74:75]
	v_div_fixup_f64 v[76:77], v[76:77], v[4:5], v[60:61]
	s_delay_alu instid0(VALU_DEP_1) | instskip(NEXT) | instid1(VALU_DEP_1)
	v_mul_f64_e32 v[60:61], v[60:61], v[76:77]
	v_fma_f64 v[6:7], v[72:73], v[6:7], -v[60:61]
.LBB32_207:                             ;   in Loop: Header=BB32_146 Depth=2
	s_or_b32 exec_lo, exec_lo, s16
	s_delay_alu instid0(SALU_CYCLE_1)
	s_mov_b32 s4, exec_lo
                                        ; implicit-def: $vgpr60_vgpr61
	v_cmpx_le_f64_e32 0, v[58:59]
	s_xor_b32 s4, exec_lo, s4
; %bb.208:                              ;   in Loop: Header=BB32_146 Depth=2
	v_add_f64_e32 v[60:61], v[58:59], v[62:63]
                                        ; implicit-def: $vgpr62_vgpr63
                                        ; implicit-def: $vgpr58_vgpr59
; %bb.209:                              ;   in Loop: Header=BB32_146 Depth=2
	s_or_saveexec_b32 s4, s4
	v_mov_b32_e32 v72, 1
	s_xor_b32 exec_lo, exec_lo, s4
; %bb.210:                              ;   in Loop: Header=BB32_146 Depth=2
	v_dual_add_f64 v[60:61], v[58:59], -v[62:63] :: v_dual_mov_b32 v72, -1
; %bb.211:                              ;   in Loop: Header=BB32_146 Depth=2
	s_or_b32 exec_lo, exec_lo, s4
	s_delay_alu instid0(VALU_DEP_1) | instskip(SKIP_1) | instid1(SALU_CYCLE_1)
	v_cmp_ngt_f64_e64 s4, |v[60:61]|, |v[56:57]|
                                        ; implicit-def: $vgpr58_vgpr59
                                        ; implicit-def: $vgpr62_vgpr63
	s_and_saveexec_b32 s16, s4
	s_xor_b32 s4, exec_lo, s16
	s_cbranch_execz .LBB32_215
; %bb.212:                              ;   in Loop: Header=BB32_146 Depth=2
	v_mov_b64_e32 v[58:59], 0
	v_mov_b64_e32 v[62:63], 1.0
	s_mov_b32 s16, exec_lo
	v_cmpx_neq_f64_e32 0, v[56:57]
	s_cbranch_execz .LBB32_214
; %bb.213:                              ;   in Loop: Header=BB32_146 Depth=2
	v_div_scale_f64 v[58:59], null, v[56:57], v[56:57], -v[60:61]
	v_div_scale_f64 v[76:77], vcc_lo, -v[60:61], v[56:57], -v[60:61]
	s_delay_alu instid0(VALU_DEP_2) | instskip(SKIP_1) | instid1(TRANS32_DEP_1)
	v_rcp_f64_e32 v[62:63], v[58:59]
	v_nop
	v_fma_f64 v[74:75], -v[58:59], v[62:63], 1.0
	s_delay_alu instid0(VALU_DEP_1) | instskip(NEXT) | instid1(VALU_DEP_1)
	v_fmac_f64_e32 v[62:63], v[62:63], v[74:75]
	v_fma_f64 v[74:75], -v[58:59], v[62:63], 1.0
	s_delay_alu instid0(VALU_DEP_1) | instskip(NEXT) | instid1(VALU_DEP_1)
	v_fmac_f64_e32 v[62:63], v[62:63], v[74:75]
	v_mul_f64_e32 v[74:75], v[76:77], v[62:63]
	s_delay_alu instid0(VALU_DEP_1) | instskip(NEXT) | instid1(VALU_DEP_1)
	v_fma_f64 v[58:59], -v[58:59], v[74:75], v[76:77]
	v_div_fmas_f64 v[58:59], v[58:59], v[62:63], v[74:75]
	s_delay_alu instid0(VALU_DEP_1) | instskip(NEXT) | instid1(VALU_DEP_1)
	v_div_fixup_f64 v[56:57], v[58:59], v[56:57], -v[60:61]
	v_fma_f64 v[58:59], v[56:57], v[56:57], 1.0
	s_delay_alu instid0(VALU_DEP_1) | instskip(SKIP_1) | instid1(VALU_DEP_1)
	v_cmp_gt_f64_e32 vcc_lo, 0x10000000, v[58:59]
	v_cndmask_b32_e64 v60, 0, 0x100, vcc_lo
	v_ldexp_f64 v[58:59], v[58:59], v60
	s_delay_alu instid0(VALU_DEP_1) | instskip(SKIP_1) | instid1(TRANS32_DEP_1)
	v_rsq_f64_e32 v[60:61], v[58:59]
	v_nop
	v_mul_f64_e32 v[62:63], v[58:59], v[60:61]
	v_mul_f64_e32 v[60:61], 0.5, v[60:61]
	s_delay_alu instid0(VALU_DEP_1) | instskip(NEXT) | instid1(VALU_DEP_1)
	v_fma_f64 v[74:75], -v[60:61], v[62:63], 0.5
	v_fmac_f64_e32 v[62:63], v[62:63], v[74:75]
	v_fmac_f64_e32 v[60:61], v[60:61], v[74:75]
	s_delay_alu instid0(VALU_DEP_2) | instskip(NEXT) | instid1(VALU_DEP_1)
	v_fma_f64 v[74:75], -v[62:63], v[62:63], v[58:59]
	v_fmac_f64_e32 v[62:63], v[74:75], v[60:61]
	s_delay_alu instid0(VALU_DEP_1) | instskip(NEXT) | instid1(VALU_DEP_1)
	v_fma_f64 v[74:75], -v[62:63], v[62:63], v[58:59]
	v_fmac_f64_e32 v[62:63], v[74:75], v[60:61]
	v_cndmask_b32_e64 v60, 0, 0xffffff80, vcc_lo
	v_cmp_class_f64_e64 vcc_lo, v[58:59], 0x260
	s_delay_alu instid0(VALU_DEP_2) | instskip(NEXT) | instid1(VALU_DEP_1)
	v_ldexp_f64 v[60:61], v[62:63], v60
	v_dual_cndmask_b32 v59, v61, v59 :: v_dual_cndmask_b32 v58, v60, v58
	s_delay_alu instid0(VALU_DEP_1) | instskip(NEXT) | instid1(VALU_DEP_1)
	v_div_scale_f64 v[60:61], null, v[58:59], v[58:59], 1.0
	v_rcp_f64_e32 v[62:63], v[60:61]
	v_nop
	s_delay_alu instid0(TRANS32_DEP_1) | instskip(NEXT) | instid1(VALU_DEP_1)
	v_fma_f64 v[74:75], -v[60:61], v[62:63], 1.0
	v_fmac_f64_e32 v[62:63], v[62:63], v[74:75]
	s_delay_alu instid0(VALU_DEP_1) | instskip(NEXT) | instid1(VALU_DEP_1)
	v_fma_f64 v[74:75], -v[60:61], v[62:63], 1.0
	v_fmac_f64_e32 v[62:63], v[62:63], v[74:75]
	v_div_scale_f64 v[74:75], vcc_lo, 1.0, v[58:59], 1.0
	s_delay_alu instid0(VALU_DEP_1) | instskip(NEXT) | instid1(VALU_DEP_1)
	v_mul_f64_e32 v[76:77], v[74:75], v[62:63]
	v_fma_f64 v[60:61], -v[60:61], v[76:77], v[74:75]
	s_delay_alu instid0(VALU_DEP_1) | instskip(NEXT) | instid1(VALU_DEP_1)
	v_div_fmas_f64 v[60:61], v[60:61], v[62:63], v[76:77]
	v_div_fixup_f64 v[62:63], v[60:61], v[58:59], 1.0
	s_delay_alu instid0(VALU_DEP_1)
	v_mul_f64_e32 v[58:59], v[56:57], v[62:63]
.LBB32_214:                             ;   in Loop: Header=BB32_146 Depth=2
	s_or_b32 exec_lo, exec_lo, s16
                                        ; implicit-def: $vgpr60_vgpr61
                                        ; implicit-def: $vgpr56_vgpr57
.LBB32_215:                             ;   in Loop: Header=BB32_146 Depth=2
	s_and_not1_saveexec_b32 s4, s4
	s_cbranch_execz .LBB32_217
; %bb.216:                              ;   in Loop: Header=BB32_146 Depth=2
	v_div_scale_f64 v[58:59], null, v[60:61], v[60:61], -v[56:57]
	v_div_scale_f64 v[76:77], vcc_lo, -v[56:57], v[60:61], -v[56:57]
	s_delay_alu instid0(VALU_DEP_2) | instskip(SKIP_1) | instid1(TRANS32_DEP_1)
	v_rcp_f64_e32 v[62:63], v[58:59]
	v_nop
	v_fma_f64 v[74:75], -v[58:59], v[62:63], 1.0
	s_delay_alu instid0(VALU_DEP_1) | instskip(NEXT) | instid1(VALU_DEP_1)
	v_fmac_f64_e32 v[62:63], v[62:63], v[74:75]
	v_fma_f64 v[74:75], -v[58:59], v[62:63], 1.0
	s_delay_alu instid0(VALU_DEP_1) | instskip(NEXT) | instid1(VALU_DEP_1)
	v_fmac_f64_e32 v[62:63], v[62:63], v[74:75]
	v_mul_f64_e32 v[74:75], v[76:77], v[62:63]
	s_delay_alu instid0(VALU_DEP_1) | instskip(NEXT) | instid1(VALU_DEP_1)
	v_fma_f64 v[58:59], -v[58:59], v[74:75], v[76:77]
	v_div_fmas_f64 v[58:59], v[58:59], v[62:63], v[74:75]
	s_delay_alu instid0(VALU_DEP_1) | instskip(NEXT) | instid1(VALU_DEP_1)
	v_div_fixup_f64 v[56:57], v[58:59], v[60:61], -v[56:57]
	v_fma_f64 v[58:59], v[56:57], v[56:57], 1.0
	s_delay_alu instid0(VALU_DEP_1) | instskip(SKIP_1) | instid1(VALU_DEP_1)
	v_cmp_gt_f64_e32 vcc_lo, 0x10000000, v[58:59]
	v_cndmask_b32_e64 v60, 0, 0x100, vcc_lo
	v_ldexp_f64 v[58:59], v[58:59], v60
	s_delay_alu instid0(VALU_DEP_1) | instskip(SKIP_1) | instid1(TRANS32_DEP_1)
	v_rsq_f64_e32 v[60:61], v[58:59]
	v_nop
	v_mul_f64_e32 v[62:63], v[58:59], v[60:61]
	v_mul_f64_e32 v[60:61], 0.5, v[60:61]
	s_delay_alu instid0(VALU_DEP_1) | instskip(NEXT) | instid1(VALU_DEP_1)
	v_fma_f64 v[74:75], -v[60:61], v[62:63], 0.5
	v_fmac_f64_e32 v[62:63], v[62:63], v[74:75]
	v_fmac_f64_e32 v[60:61], v[60:61], v[74:75]
	s_delay_alu instid0(VALU_DEP_2) | instskip(NEXT) | instid1(VALU_DEP_1)
	v_fma_f64 v[74:75], -v[62:63], v[62:63], v[58:59]
	v_fmac_f64_e32 v[62:63], v[74:75], v[60:61]
	s_delay_alu instid0(VALU_DEP_1) | instskip(NEXT) | instid1(VALU_DEP_1)
	v_fma_f64 v[74:75], -v[62:63], v[62:63], v[58:59]
	v_fmac_f64_e32 v[62:63], v[74:75], v[60:61]
	v_cndmask_b32_e64 v60, 0, 0xffffff80, vcc_lo
	v_cmp_class_f64_e64 vcc_lo, v[58:59], 0x260
	s_delay_alu instid0(VALU_DEP_2) | instskip(NEXT) | instid1(VALU_DEP_1)
	v_ldexp_f64 v[60:61], v[62:63], v60
	v_dual_cndmask_b32 v59, v61, v59 :: v_dual_cndmask_b32 v58, v60, v58
	s_delay_alu instid0(VALU_DEP_1) | instskip(NEXT) | instid1(VALU_DEP_1)
	v_div_scale_f64 v[60:61], null, v[58:59], v[58:59], 1.0
	v_rcp_f64_e32 v[62:63], v[60:61]
	v_nop
	s_delay_alu instid0(TRANS32_DEP_1) | instskip(NEXT) | instid1(VALU_DEP_1)
	v_fma_f64 v[74:75], -v[60:61], v[62:63], 1.0
	v_fmac_f64_e32 v[62:63], v[62:63], v[74:75]
	s_delay_alu instid0(VALU_DEP_1) | instskip(NEXT) | instid1(VALU_DEP_1)
	v_fma_f64 v[74:75], -v[60:61], v[62:63], 1.0
	v_fmac_f64_e32 v[62:63], v[62:63], v[74:75]
	v_div_scale_f64 v[74:75], vcc_lo, 1.0, v[58:59], 1.0
	s_delay_alu instid0(VALU_DEP_1) | instskip(NEXT) | instid1(VALU_DEP_1)
	v_mul_f64_e32 v[76:77], v[74:75], v[62:63]
	v_fma_f64 v[60:61], -v[60:61], v[76:77], v[74:75]
	s_delay_alu instid0(VALU_DEP_1) | instskip(NEXT) | instid1(VALU_DEP_1)
	v_div_fmas_f64 v[60:61], v[60:61], v[62:63], v[76:77]
	v_div_fixup_f64 v[58:59], v[60:61], v[58:59], 1.0
	s_delay_alu instid0(VALU_DEP_1)
	v_mul_f64_e32 v[62:63], v[56:57], v[58:59]
.LBB32_217:                             ;   in Loop: Header=BB32_146 Depth=2
	s_or_b32 exec_lo, exec_lo, s4
	s_delay_alu instid0(VALU_DEP_1)
	v_xor_b32_e32 v60, 0x80000000, v59
	v_cmp_eq_u32_e32 vcc_lo, v41, v72
	v_add_nc_u64_e32 v[56:57], v[12:13], v[46:47]
	v_add_nc_u64_e32 v[46:47], v[48:49], v[46:47]
	v_add_nc_u32_e32 v40, -2, v40
	v_dual_cndmask_b32 v61, v63, v60 :: v_dual_cndmask_b32 v60, v62, v58
	v_dual_cndmask_b32 v59, v59, v63 :: v_dual_cndmask_b32 v58, v58, v62
	s_clause 0x1
	flat_store_b64 v[56:57], v[60:61]
	flat_store_b64 v[46:47], v[58:59] offset:-8
	flat_store_b128 v[42:43], v[4:7] offset:-8
	flat_store_b64 v[44:45], v[86:87] offset:-8
	ds_store_b32 v35, v40
	s_wait_xcnt 0x0
	s_or_b32 exec_lo, exec_lo, s15
                                        ; implicit-def: $vgpr42_vgpr43
                                        ; implicit-def: $vgpr6_vgpr7
                                        ; implicit-def: $vgpr5
.LBB32_218:                             ;   in Loop: Header=BB32_146 Depth=2
	s_and_not1_saveexec_b32 s4, s14
	s_cbranch_execz .LBB32_220
.LBB32_219:                             ;   in Loop: Header=BB32_146 Depth=2
	flat_store_b64 v[42:43], v[6:7]
	ds_store_b32 v35, v5
.LBB32_220:                             ;   in Loop: Header=BB32_146 Depth=2
	s_wait_xcnt 0x0
	s_or_b32 exec_lo, exec_lo, s4
.LBB32_221:                             ;   in Loop: Header=BB32_146 Depth=2
	s_delay_alu instid0(SALU_CYCLE_1)
	s_or_b32 exec_lo, exec_lo, s13
	s_wait_storecnt 0x0
	s_wait_loadcnt_dscnt 0x0
	s_barrier_signal -1
	s_barrier_wait -1
	ds_load_b32 v40, v36
	ds_load_b32 v4, v35
	s_mov_b32 s13, exec_lo
	s_wait_dscnt 0x0
	v_cmpx_ne_u32_e64 v40, v4
	s_cbranch_execz .LBB32_145
; %bb.222:                              ;   in Loop: Header=BB32_146 Depth=2
	s_and_saveexec_b32 s14, s3
	s_cbranch_execz .LBB32_144
; %bb.223:                              ;   in Loop: Header=BB32_146 Depth=2
	global_load_b32 v4, v[20:21], off offset:16
	v_mul_lo_u32 v6, v40, v16
	v_ashrrev_i32_e32 v41, 31, v40
	s_mov_b32 s15, 0
	s_delay_alu instid0(VALU_DEP_2) | instskip(NEXT) | instid1(VALU_DEP_1)
	v_dual_mov_b32 v46, v0 :: v_dual_ashrrev_i32 v7, 31, v6
	v_lshlrev_b64_e32 v[42:43], 3, v[6:7]
	s_delay_alu instid0(VALU_DEP_1)
	v_add_nc_u64_e32 v[6:7], v[8:9], v[42:43]
	v_add_nc_u64_e32 v[42:43], v[82:83], v[42:43]
	s_wait_loadcnt 0x0
	ds_load_b32 v4, v4
	s_wait_dscnt 0x0
	v_sub_nc_u32_e32 v4, v4, v40
	v_lshl_add_u64 v[40:41], v[40:41], 3, v[12:13]
	s_delay_alu instid0(VALU_DEP_2) | instskip(SKIP_1) | instid1(VALU_DEP_2)
	v_ashrrev_i32_e32 v5, 31, v4
	v_cmp_lt_i32_e32 vcc_lo, 0, v4
	v_mul_u64_e32 v[44:45], v[4:5], v[16:17]
	s_delay_alu instid0(VALU_DEP_1)
	v_lshl_add_u64 v[44:45], v[44:45], 3, v[6:7]
	s_branch .LBB32_225
.LBB32_224:                             ;   in Loop: Header=BB32_225 Depth=3
	s_or_b32 exec_lo, exec_lo, s16
	v_lshl_add_u64 v[58:59], v[46:47], 3, v[44:45]
	v_add_nc_u32_e32 v46, v46, v24
	v_add_nc_u64_e32 v[42:43], v[42:43], v[64:65]
	s_wait_loadcnt_dscnt 0x0
	flat_store_b64 v[58:59], v[56:57]
	v_cmp_ge_i32_e64 s4, v46, v2
	s_or_b32 s15, s4, s15
	s_wait_xcnt 0x0
	s_and_not1_b32 exec_lo, exec_lo, s15
	s_cbranch_execz .LBB32_144
.LBB32_225:                             ;   Parent Loop BB32_8 Depth=1
                                        ;     Parent Loop BB32_146 Depth=2
                                        ; =>    This Loop Header: Depth=3
                                        ;         Child Loop BB32_227 Depth 4
	v_ashrrev_i32_e32 v47, 31, v46
	s_delay_alu instid0(VALU_DEP_1)
	v_lshl_add_u64 v[56:57], v[46:47], 3, v[6:7]
	flat_load_b64 v[56:57], v[56:57]
	s_wait_xcnt 0x0
	s_and_saveexec_b32 s16, vcc_lo
	s_cbranch_execz .LBB32_224
; %bb.226:                              ;   in Loop: Header=BB32_225 Depth=3
	v_mov_b64_e32 v[58:59], v[40:41]
	v_mov_b64_e32 v[60:61], v[42:43]
	v_mov_b32_e32 v5, v4
	s_mov_b32 s17, 0
.LBB32_227:                             ;   Parent Loop BB32_8 Depth=1
                                        ;     Parent Loop BB32_146 Depth=2
                                        ;       Parent Loop BB32_225 Depth=3
                                        ; =>      This Inner Loop Header: Depth=4
	s_delay_alu instid0(VALU_DEP_1) | instskip(NEXT) | instid1(VALU_DEP_4)
	v_add_nc_u64_e32 v[62:63], v[60:61], v[54:55]
	v_add_nc_u64_e32 v[72:73], v[58:59], v[50:51]
	flat_load_b64 v[74:75], v[62:63]
	s_clause 0x1
	flat_load_b64 v[72:73], v[72:73]
	flat_load_b64 v[76:77], v[58:59]
	s_wait_xcnt 0x0
	v_add_nc_u64_e32 v[58:59], 8, v[58:59]
	v_add_nc_u32_e32 v5, -1, v5
	s_delay_alu instid0(VALU_DEP_1)
	v_cmp_eq_u32_e64 s4, 0, v5
	s_or_b32 s17, s4, s17
	s_wait_loadcnt_dscnt 0x101
	v_mul_f64_e32 v[78:79], v[72:73], v[74:75]
	v_mul_f64_e32 v[72:73], v[56:57], v[72:73]
	s_wait_loadcnt_dscnt 0x0
	s_delay_alu instid0(VALU_DEP_2) | instskip(NEXT) | instid1(VALU_DEP_2)
	v_fmac_f64_e32 v[78:79], v[56:57], v[76:77]
	v_fma_f64 v[56:57], v[76:77], v[74:75], -v[72:73]
	flat_store_b64 v[60:61], v[78:79]
	s_wait_xcnt 0x0
	v_mov_b64_e32 v[60:61], v[62:63]
	s_and_not1_b32 exec_lo, exec_lo, s17
	s_cbranch_execnz .LBB32_227
; %bb.228:                              ;   in Loop: Header=BB32_225 Depth=3
	s_or_b32 exec_lo, exec_lo, s17
	s_branch .LBB32_224
.LBB32_229:                             ;   in Loop: Header=BB32_146 Depth=2
	s_or_b32 exec_lo, exec_lo, s15
                                        ; implicit-def: $vgpr42_vgpr43
                                        ; implicit-def: $vgpr6_vgpr7
                                        ; implicit-def: $vgpr5
	s_and_not1_saveexec_b32 s4, s14
	s_cbranch_execnz .LBB32_219
	s_branch .LBB32_220
.LBB32_230:                             ;   in Loop: Header=BB32_8 Depth=1
	s_or_b32 exec_lo, exec_lo, s12
.LBB32_231:                             ;   in Loop: Header=BB32_8 Depth=1
	s_delay_alu instid0(SALU_CYCLE_1)
	s_or_b32 exec_lo, exec_lo, s11
.LBB32_232:                             ;   in Loop: Header=BB32_8 Depth=1
	s_delay_alu instid0(SALU_CYCLE_1)
	s_or_b32 exec_lo, exec_lo, s5
	s_barrier_signal -1
	s_barrier_wait -1
	ds_load_b64 v[4:5], v119
	s_mov_b32 s4, exec_lo
	s_wait_dscnt 0x0
	v_cmpx_gt_f64_e32 v[4:5], v[28:29]
	s_cbranch_execz .LBB32_238
; %bb.233:                              ;   in Loop: Header=BB32_8 Depth=1
	s_clause 0x1
	global_load_b32 v35, v[20:21], off offset:16
	global_load_b32 v36, v[20:21], off offset:32
	v_div_scale_f64 v[6:7], null, v[4:5], v[4:5], v[28:29]
	v_div_scale_f64 v[44:45], vcc_lo, v[28:29], v[4:5], v[28:29]
	s_delay_alu instid0(VALU_DEP_2) | instskip(SKIP_1) | instid1(TRANS32_DEP_1)
	v_rcp_f64_e32 v[40:41], v[6:7]
	v_nop
	v_fma_f64 v[42:43], -v[6:7], v[40:41], 1.0
	s_delay_alu instid0(VALU_DEP_1) | instskip(NEXT) | instid1(VALU_DEP_1)
	v_fmac_f64_e32 v[40:41], v[40:41], v[42:43]
	v_fma_f64 v[42:43], -v[6:7], v[40:41], 1.0
	s_delay_alu instid0(VALU_DEP_1) | instskip(NEXT) | instid1(VALU_DEP_1)
	v_fmac_f64_e32 v[40:41], v[40:41], v[42:43]
	v_mul_f64_e32 v[42:43], v[44:45], v[40:41]
	s_delay_alu instid0(VALU_DEP_1) | instskip(NEXT) | instid1(VALU_DEP_1)
	v_fma_f64 v[6:7], -v[6:7], v[42:43], v[44:45]
	v_div_fmas_f64 v[6:7], v[6:7], v[40:41], v[42:43]
	s_delay_alu instid0(VALU_DEP_1)
	v_div_fixup_f64 v[4:5], v[6:7], v[4:5], v[28:29]
	s_wait_loadcnt 0x1
	ds_load_b32 v35, v35
	s_wait_loadcnt 0x0
	ds_load_b32 v6, v36
	s_and_saveexec_b32 s5, s2
	s_cbranch_execz .LBB32_235
; %bb.234:                              ;   in Loop: Header=BB32_8 Depth=1
	s_wait_dscnt 0x0
	v_ashrrev_i32_e32 v7, 31, v6
	s_delay_alu instid0(VALU_DEP_1)
	v_lshl_add_u64 v[40:41], v[6:7], 3, v[18:19]
	flat_load_b64 v[42:43], v[40:41]
	s_wait_loadcnt_dscnt 0x0
	v_mul_f64_e32 v[42:43], v[4:5], v[42:43]
	flat_store_b64 v[40:41], v[42:43]
.LBB32_235:                             ;   in Loop: Header=BB32_8 Depth=1
	s_wait_xcnt 0x0
	s_or_b32 exec_lo, exec_lo, s5
	s_wait_dscnt 0x1
	v_add_nc_u32_e32 v40, v35, v0
	s_wait_dscnt 0x0
	s_delay_alu instid0(VALU_DEP_1)
	v_cmp_lt_i32_e32 vcc_lo, v40, v6
	s_and_b32 exec_lo, exec_lo, vcc_lo
	s_cbranch_execz .LBB32_238
; %bb.236:                              ;   in Loop: Header=BB32_8 Depth=1
	v_ashrrev_i32_e32 v41, 31, v40
	s_mov_b32 s5, 0
	s_delay_alu instid0(VALU_DEP_1)
	v_lshlrev_b64_e32 v[42:43], 3, v[40:41]
.LBB32_237:                             ;   Parent Loop BB32_8 Depth=1
                                        ; =>  This Inner Loop Header: Depth=2
	s_delay_alu instid0(VALU_DEP_1) | instskip(SKIP_3) | instid1(VALU_DEP_2)
	v_add_nc_u64_e32 v[44:45], v[18:19], v[42:43]
	v_add_nc_u64_e32 v[56:57], v[26:27], v[42:43]
	v_add_nc_u32_e32 v40, v40, v24
	v_add_nc_u64_e32 v[42:43], v[42:43], v[64:65]
	v_cmp_ge_i32_e32 vcc_lo, v40, v6
	flat_load_b64 v[46:47], v[44:45]
	s_or_b32 s5, vcc_lo, s5
	s_wait_loadcnt_dscnt 0x0
	v_mul_f64_e32 v[46:47], v[4:5], v[46:47]
	flat_store_b64 v[44:45], v[46:47]
	flat_load_b64 v[44:45], v[56:57]
	s_wait_loadcnt_dscnt 0x0
	v_mul_f64_e32 v[44:45], v[4:5], v[44:45]
	flat_store_b64 v[56:57], v[44:45]
	s_wait_xcnt 0x0
	s_and_not1_b32 exec_lo, exec_lo, s5
	s_cbranch_execnz .LBB32_237
.LBB32_238:                             ;   in Loop: Header=BB32_8 Depth=1
	s_or_b32 exec_lo, exec_lo, s4
	ds_load_b64 v[4:5], v119
	s_mov_b32 s4, exec_lo
	s_wait_dscnt 0x0
	v_cmpx_lt_f64_e32 v[4:5], v[30:31]
	s_cbranch_execz .LBB32_6
; %bb.239:                              ;   in Loop: Header=BB32_8 Depth=1
	s_clause 0x1
	global_load_b32 v35, v[20:21], off offset:16
	global_load_b32 v36, v[20:21], off offset:32
	v_div_scale_f64 v[6:7], null, v[4:5], v[4:5], v[30:31]
	v_div_scale_f64 v[42:43], vcc_lo, v[30:31], v[4:5], v[30:31]
	s_delay_alu instid0(VALU_DEP_2) | instskip(SKIP_1) | instid1(TRANS32_DEP_1)
	v_rcp_f64_e32 v[118:119], v[6:7]
	v_nop
	v_fma_f64 v[40:41], -v[6:7], v[118:119], 1.0
	s_delay_alu instid0(VALU_DEP_1) | instskip(NEXT) | instid1(VALU_DEP_1)
	v_fmac_f64_e32 v[118:119], v[118:119], v[40:41]
	v_fma_f64 v[40:41], -v[6:7], v[118:119], 1.0
	s_delay_alu instid0(VALU_DEP_1) | instskip(NEXT) | instid1(VALU_DEP_1)
	v_fmac_f64_e32 v[118:119], v[118:119], v[40:41]
	v_mul_f64_e32 v[40:41], v[42:43], v[118:119]
	s_delay_alu instid0(VALU_DEP_1) | instskip(NEXT) | instid1(VALU_DEP_1)
	v_fma_f64 v[6:7], -v[6:7], v[40:41], v[42:43]
	v_div_fmas_f64 v[6:7], v[6:7], v[118:119], v[40:41]
	s_delay_alu instid0(VALU_DEP_1)
	v_div_fixup_f64 v[4:5], v[6:7], v[4:5], v[30:31]
	s_wait_loadcnt 0x1
	ds_load_b32 v35, v35
	s_wait_loadcnt 0x0
	ds_load_b32 v6, v36
	s_wait_xcnt 0x0
	s_and_saveexec_b32 s5, s2
	s_cbranch_execz .LBB32_241
; %bb.240:                              ;   in Loop: Header=BB32_8 Depth=1
	s_wait_dscnt 0x0
	v_ashrrev_i32_e32 v7, 31, v6
	s_delay_alu instid0(VALU_DEP_1)
	v_lshl_add_u64 v[118:119], v[6:7], 3, v[18:19]
	flat_load_b64 v[40:41], v[118:119]
	s_wait_loadcnt_dscnt 0x0
	v_mul_f64_e32 v[40:41], v[4:5], v[40:41]
	flat_store_b64 v[118:119], v[40:41]
.LBB32_241:                             ;   in Loop: Header=BB32_8 Depth=1
	s_wait_xcnt 0x0
	s_or_b32 exec_lo, exec_lo, s5
	s_wait_dscnt 0x1
	v_add_nc_u32_e32 v118, v35, v0
	s_wait_dscnt 0x0
	s_delay_alu instid0(VALU_DEP_1)
	v_cmp_lt_i32_e32 vcc_lo, v118, v6
	s_and_b32 exec_lo, exec_lo, vcc_lo
	s_cbranch_execz .LBB32_6
; %bb.242:                              ;   in Loop: Header=BB32_8 Depth=1
	v_ashrrev_i32_e32 v119, 31, v118
	s_mov_b32 s5, 0
	s_delay_alu instid0(VALU_DEP_1)
	v_lshlrev_b64_e32 v[40:41], 3, v[118:119]
.LBB32_243:                             ;   Parent Loop BB32_8 Depth=1
                                        ; =>  This Inner Loop Header: Depth=2
	s_delay_alu instid0(VALU_DEP_1)
	v_add_nc_u64_e32 v[42:43], v[18:19], v[40:41]
	v_add_nc_u64_e32 v[46:47], v[26:27], v[40:41]
	;; [unrolled: 1-line block ×3, first 2 shown]
	v_add_nc_u32_e32 v118, v118, v24
	flat_load_b64 v[44:45], v[42:43]
	v_cmp_ge_i32_e32 vcc_lo, v118, v6
	s_or_b32 s5, vcc_lo, s5
	s_wait_loadcnt_dscnt 0x0
	v_mul_f64_e32 v[44:45], v[4:5], v[44:45]
	flat_store_b64 v[42:43], v[44:45]
	flat_load_b64 v[42:43], v[46:47]
	s_wait_loadcnt_dscnt 0x0
	v_mul_f64_e32 v[42:43], v[4:5], v[42:43]
	flat_store_b64 v[46:47], v[42:43]
	s_wait_xcnt 0x0
	s_and_not1_b32 exec_lo, exec_lo, s5
	s_cbranch_execnz .LBB32_243
	s_branch .LBB32_6
.LBB32_244:
	s_or_b32 exec_lo, exec_lo, s8
	s_delay_alu instid0(SALU_CYCLE_1)
	s_mov_b32 s2, exec_lo
	v_cmpx_lt_i32_e64 v0, v34
	s_cbranch_execz .LBB32_249
; %bb.245:
	v_lshlrev_b64_e32 v[4:5], 3, v[24:25]
	v_lshl_add_u64 v[6:7], v[0:1], 3, v[26:27]
	v_mov_b32_e32 v1, 1
	s_mov_b32 s3, 0
	s_branch .LBB32_247
.LBB32_246:                             ;   in Loop: Header=BB32_247 Depth=1
	s_wait_xcnt 0x0
	s_or_b32 exec_lo, exec_lo, s4
	v_add_nc_u32_e32 v0, v0, v24
	v_add_nc_u64_e32 v[6:7], v[6:7], v[4:5]
	s_delay_alu instid0(VALU_DEP_2) | instskip(SKIP_1) | instid1(SALU_CYCLE_1)
	v_cmp_ge_i32_e32 vcc_lo, v0, v34
	s_or_b32 s3, vcc_lo, s3
	s_and_not1_b32 exec_lo, exec_lo, s3
	s_cbranch_execz .LBB32_249
.LBB32_247:                             ; =>This Inner Loop Header: Depth=1
	flat_load_b64 v[12:13], v[6:7]
	s_mov_b32 s4, exec_lo
	s_wait_loadcnt_dscnt 0x0
	s_wait_xcnt 0x0
	v_cmpx_neq_f64_e32 0, v[12:13]
	s_cbranch_execz .LBB32_246
; %bb.248:                              ;   in Loop: Header=BB32_247 Depth=1
	flat_atomic_add_u32 v[10:11], v1 scope:SCOPE_DEV
	s_branch .LBB32_246
.LBB32_249:
	s_or_b32 exec_lo, exec_lo, s2
	v_cmp_lt_i32_e32 vcc_lo, 1, v2
	s_mov_b32 s2, 1
	s_and_b32 s3, s1, vcc_lo
	s_delay_alu instid0(SALU_CYCLE_1)
	s_and_saveexec_b32 s1, s3
	s_cbranch_execz .LBB32_265
; %bb.250:
	s_mov_b32 s4, 0
	s_branch .LBB32_252
.LBB32_251:                             ;   in Loop: Header=BB32_252 Depth=1
	s_or_b32 exec_lo, exec_lo, s3
	s_add_co_i32 s2, s2, 1
	v_add_nc_u64_e32 v[22:23], 8, v[22:23]
	v_cmp_eq_u32_e32 vcc_lo, s2, v2
	s_wait_storecnt_dscnt 0x0
	s_barrier_signal -1
	s_barrier_wait -1
	s_or_b32 s4, vcc_lo, s4
	s_delay_alu instid0(SALU_CYCLE_1)
	s_and_not1_b32 exec_lo, exec_lo, s4
	s_cbranch_execz .LBB32_265
.LBB32_252:                             ; =>This Loop Header: Depth=1
                                        ;     Child Loop BB32_257 Depth 2
                                        ;     Child Loop BB32_264 Depth 2
                                        ; implicit-def: $vgpr5
	s_and_saveexec_b32 s3, s0
	s_delay_alu instid0(SALU_CYCLE_1)
	s_xor_b32 s3, exec_lo, s3
	s_cbranch_execz .LBB32_254
; %bb.253:                              ;   in Loop: Header=BB32_252 Depth=1
	global_load_b64 v[4:5], v[20:21], off
.LBB32_254:                             ;   in Loop: Header=BB32_252 Depth=1
	s_wait_xcnt 0x0
	s_and_not1_saveexec_b32 s5, s3
	s_cbranch_execz .LBB32_262
; %bb.255:                              ;   in Loop: Header=BB32_252 Depth=1
	s_ashr_i32 s3, s2, 31
	s_wait_loadcnt 0x0
	global_load_b96 v[4:6], v[20:21], off
	v_lshl_add_u64 v[0:1], s[2:3], 3, v[18:19]
	s_add_co_i32 s3, s2, -1
	v_mov_b64_e32 v[14:15], v[22:23]
	v_mov_b32_e32 v10, s3
	s_mov_b32 s6, 0
	flat_load_b64 v[12:13], v[0:1] offset:-8
	s_mov_b32 s7, s2
	s_wait_loadcnt 0x1
	ds_store_b32 v4, v10
	ds_store_b32 v5, v10
	s_wait_loadcnt_dscnt 0x2
	ds_store_b64 v6, v[12:13]
	s_branch .LBB32_257
.LBB32_256:                             ;   in Loop: Header=BB32_257 Depth=2
	s_or_b32 exec_lo, exec_lo, s8
	s_add_co_i32 s7, s7, 1
	v_add_nc_u64_e32 v[14:15], 8, v[14:15]
	v_cmp_eq_u32_e32 vcc_lo, s7, v2
	s_or_b32 s6, vcc_lo, s6
	s_delay_alu instid0(SALU_CYCLE_1)
	s_and_not1_b32 exec_lo, exec_lo, s6
	s_cbranch_execz .LBB32_259
.LBB32_257:                             ;   Parent Loop BB32_252 Depth=1
                                        ; =>  This Inner Loop Header: Depth=2
	flat_load_b64 v[24:25], v[14:15]
	s_mov_b32 s8, exec_lo
	s_wait_loadcnt_dscnt 0x0
	v_cmpx_lt_f64_e32 v[24:25], v[12:13]
	s_cbranch_execz .LBB32_256
; %bb.258:                              ;   in Loop: Header=BB32_257 Depth=2
	v_mov_b64_e32 v[12:13], v[24:25]
	v_mov_b32_e32 v10, s7
	ds_store_b32 v5, v10
	ds_store_b64 v6, v[24:25]
	s_branch .LBB32_256
.LBB32_259:                             ;   in Loop: Header=BB32_252 Depth=1
	s_or_b32 exec_lo, exec_lo, s6
	v_cmp_ne_u32_e32 vcc_lo, s3, v10
	s_and_saveexec_b32 s3, vcc_lo
	s_cbranch_execz .LBB32_261
; %bb.260:                              ;   in Loop: Header=BB32_252 Depth=1
	flat_load_b64 v[12:13], v[0:1] offset:-8
	v_ashrrev_i32_e32 v11, 31, v10
	s_delay_alu instid0(VALU_DEP_1)
	v_lshl_add_u64 v[10:11], v[10:11], 3, v[18:19]
	s_wait_loadcnt_dscnt 0x0
	flat_store_b64 v[10:11], v[12:13]
	ds_load_b64 v[6:7], v6
	s_wait_dscnt 0x0
	flat_store_b64 v[0:1], v[6:7] offset:-8
.LBB32_261:                             ;   in Loop: Header=BB32_252 Depth=1
	s_wait_xcnt 0x0
	s_or_b32 exec_lo, exec_lo, s3
.LBB32_262:                             ;   in Loop: Header=BB32_252 Depth=1
	s_delay_alu instid0(SALU_CYCLE_1)
	s_or_b32 exec_lo, exec_lo, s5
	s_wait_storecnt 0x0
	s_wait_loadcnt_dscnt 0x0
	s_barrier_signal -1
	s_barrier_wait -1
	ds_load_b32 v0, v5
	ds_load_b32 v1, v4
	s_mov_b32 s3, exec_lo
	s_wait_dscnt 0x0
	v_cmpx_ne_u32_e64 v0, v1
	s_cbranch_execz .LBB32_251
; %bb.263:                              ;   in Loop: Header=BB32_252 Depth=1
	v_mul_lo_u32 v0, v0, v16
	v_mul_lo_u32 v4, v1, v16
	s_mov_b32 s5, 0
	s_delay_alu instid0(VALU_DEP_2) | instskip(NEXT) | instid1(VALU_DEP_2)
	v_dual_mov_b32 v3, v2 :: v_dual_ashrrev_i32 v1, 31, v0
	v_ashrrev_i32_e32 v5, 31, v4
	s_delay_alu instid0(VALU_DEP_2) | instskip(NEXT) | instid1(VALU_DEP_2)
	v_lshl_add_u64 v[0:1], v[0:1], 3, v[8:9]
	v_lshl_add_u64 v[4:5], v[4:5], 3, v[8:9]
.LBB32_264:                             ;   Parent Loop BB32_252 Depth=1
                                        ; =>  This Inner Loop Header: Depth=2
	flat_load_b64 v[6:7], v[0:1]
	flat_load_b64 v[10:11], v[4:5]
	v_add_nc_u32_e32 v3, -1, v3
	s_wait_loadcnt_dscnt 0x101
	flat_store_b64 v[4:5], v[6:7]
	s_wait_loadcnt_dscnt 0x1
	flat_store_b64 v[0:1], v[10:11]
	v_cmp_eq_u32_e32 vcc_lo, 0, v3
	s_wait_xcnt 0x0
	v_add_nc_u64_e32 v[0:1], 8, v[0:1]
	v_add_nc_u64_e32 v[4:5], 8, v[4:5]
	s_or_b32 s5, vcc_lo, s5
	s_delay_alu instid0(SALU_CYCLE_1)
	s_and_not1_b32 exec_lo, exec_lo, s5
	s_cbranch_execnz .LBB32_264
	s_branch .LBB32_251
.LBB32_265:
	s_or_b32 exec_lo, exec_lo, s1
	s_clause 0x25
	scratch_load_b32 v109, off, s32
	scratch_load_b32 v108, off, s32 offset:4
	scratch_load_b32 v107, off, s32 offset:8
	;; [unrolled: 1-line block ×37, first 2 shown]
	s_wait_loadcnt_dscnt 0x0
	s_set_pc_i64 s[30:31]
.Lfunc_end32:
	.size	_ZN9rocsolver6v331009run_steqrIddEEviiiPT0_S3_PT_iPiS3_iS2_S2_S2_b, .Lfunc_end32-_ZN9rocsolver6v331009run_steqrIddEEviiiPT0_S3_PT_iPiS3_iS2_S2_S2_b
                                        ; -- End function
	.set .L_ZN9rocsolver6v331009run_steqrIddEEviiiPT0_S3_PT_iPiS3_iS2_S2_S2_b.num_vgpr, 120
	.set .L_ZN9rocsolver6v331009run_steqrIddEEviiiPT0_S3_PT_iPiS3_iS2_S2_S2_b.num_agpr, 0
	.set .L_ZN9rocsolver6v331009run_steqrIddEEviiiPT0_S3_PT_iPiS3_iS2_S2_S2_b.numbered_sgpr, 33
	.set .L_ZN9rocsolver6v331009run_steqrIddEEviiiPT0_S3_PT_iPiS3_iS2_S2_S2_b.num_named_barrier, 0
	.set .L_ZN9rocsolver6v331009run_steqrIddEEviiiPT0_S3_PT_iPiS3_iS2_S2_S2_b.private_seg_size, 156
	.set .L_ZN9rocsolver6v331009run_steqrIddEEviiiPT0_S3_PT_iPiS3_iS2_S2_S2_b.uses_vcc, 1
	.set .L_ZN9rocsolver6v331009run_steqrIddEEviiiPT0_S3_PT_iPiS3_iS2_S2_S2_b.uses_flat_scratch, 1
	.set .L_ZN9rocsolver6v331009run_steqrIddEEviiiPT0_S3_PT_iPiS3_iS2_S2_S2_b.has_dyn_sized_stack, 0
	.set .L_ZN9rocsolver6v331009run_steqrIddEEviiiPT0_S3_PT_iPiS3_iS2_S2_S2_b.has_recursion, 0
	.set .L_ZN9rocsolver6v331009run_steqrIddEEviiiPT0_S3_PT_iPiS3_iS2_S2_S2_b.has_indirect_call, 0
	.section	.AMDGPU.csdata,"",@progbits
; Function info:
; codeLenInByte = 17748
; TotalNumSgprs: 35
; NumVgprs: 120
; ScratchSize: 156
; MemoryBound: 0
	.section	.text._ZN9rocsolver6v33100L12steqr_kernelIddPdEEviPT0_lS4_lT1_iilPiS4_iS3_S3_S3_,"axG",@progbits,_ZN9rocsolver6v33100L12steqr_kernelIddPdEEviPT0_lS4_lT1_iilPiS4_iS3_S3_S3_,comdat
	.globl	_ZN9rocsolver6v33100L12steqr_kernelIddPdEEviPT0_lS4_lT1_iilPiS4_iS3_S3_S3_ ; -- Begin function _ZN9rocsolver6v33100L12steqr_kernelIddPdEEviPT0_lS4_lT1_iilPiS4_iS3_S3_S3_
	.p2align	8
	.type	_ZN9rocsolver6v33100L12steqr_kernelIddPdEEviPT0_lS4_lT1_iilPiS4_iS3_S3_S3_,@function
_ZN9rocsolver6v33100L12steqr_kernelIddPdEEviPT0_lS4_lT1_iilPiS4_iS3_S3_S3_: ; @_ZN9rocsolver6v33100L12steqr_kernelIddPdEEviPT0_lS4_lT1_iilPiS4_iS3_S3_S3_
; %bb.0:
	s_clause 0x6
	s_load_b32 s23, s[0:1], 0x0
	s_load_b32 s3, s[0:1], 0x7c
	s_load_b96 s[16:18], s[0:1], 0x68
	s_load_b256 s[24:31], s[0:1], 0x8
	s_load_b256 s[4:11], s[0:1], 0x28
	s_load_b96 s[20:22], s[0:1], 0x48
	s_load_b128 s[12:15], s[0:1], 0x58
	s_bfe_u32 s19, ttmp6, 0x4000c
	s_bfe_u32 s33, ttmp6, 0x40010
	s_add_co_i32 s19, s19, 1
	s_and_b32 s2, ttmp6, 15
	s_add_co_i32 s33, s33, 1
	s_mul_i32 s19, ttmp9, s19
	s_bfe_u32 s34, ttmp6, 0x40004
	s_mul_i32 s33, ttmp7, s33
	s_add_co_i32 s19, s2, s19
	s_getreg_b32 s35, hwreg(HW_REG_IB_STS2, 6, 4)
	s_add_co_i32 s34, s34, s33
	v_mov_b32_e32 v21, 1
	s_mov_b32 s32, 0
	s_wait_kmcnt 0x0
	s_lshl_b32 s2, s23, 1
	s_and_b32 s33, s3, 0xffff
	s_ashr_i32 s3, s2, 31
	s_cmp_eq_u32 s35, 0
	s_mul_i32 s35, s18, s33
	s_cselect_b32 s18, ttmp7, s34
	s_cselect_b32 s34, ttmp9, s19
	s_ashr_i32 s19, s18, 31
	v_mad_u32 v0, s34, s33, v0
	s_mul_u64 s[26:27], s[26:27], s[18:19]
	s_mul_u64 s[30:31], s[30:31], s[18:19]
	;; [unrolled: 1-line block ×3, first 2 shown]
	s_lshl_b64 s[26:27], s[26:27], 3
	s_lshl_b64 s[30:31], s[30:31], 3
	s_add_nc_u64 s[24:25], s[24:25], s[26:27]
	s_add_nc_u64 s[26:27], s[28:29], s[30:31]
	s_ashr_i32 s29, s6, 31
	s_lshl_b64 s[8:9], s[8:9], 3
	s_mov_b32 s28, s6
	s_add_nc_u64 s[4:5], s[4:5], s[8:9]
	s_lshl_b64 s[8:9], s[28:29], 3
	s_mul_u64 s[2:3], s[2:3], s[18:19]
	s_add_nc_u64 s[4:5], s[4:5], s[8:9]
	s_lshl_b64 s[2:3], s[2:3], 3
	s_lshl_b64 s[8:9], s[18:19], 2
	s_add_nc_u64 s[2:3], s[20:21], s[2:3]
	s_add_nc_u64 s[10:11], s[10:11], s[8:9]
	v_dual_mov_b32 v1, s35 :: v_dual_mov_b32 v2, s23
	v_dual_mov_b32 v3, s24 :: v_dual_mov_b32 v4, s25
	;; [unrolled: 1-line block ×10, first 2 shown]
	s_add_nc_u64 s[8:9], s[0:1], 0x70
	s_get_pc_i64 s[0:1]
	s_add_nc_u64 s[0:1], s[0:1], _ZN9rocsolver6v331009run_steqrIddEEviiiPT0_S3_PT_iPiS3_iS2_S2_S2_b@rel64+4
	s_mov_b32 s15, 0
	s_swap_pc_i64 s[30:31], s[0:1]
	s_endpgm
	.section	.rodata,"a",@progbits
	.p2align	6, 0x0
	.amdhsa_kernel _ZN9rocsolver6v33100L12steqr_kernelIddPdEEviPT0_lS4_lT1_iilPiS4_iS3_S3_S3_
		.amdhsa_group_segment_fixed_size 48
		.amdhsa_private_segment_fixed_size 156
		.amdhsa_kernarg_size 368
		.amdhsa_user_sgpr_count 2
		.amdhsa_user_sgpr_dispatch_ptr 0
		.amdhsa_user_sgpr_queue_ptr 0
		.amdhsa_user_sgpr_kernarg_segment_ptr 1
		.amdhsa_user_sgpr_dispatch_id 0
		.amdhsa_user_sgpr_kernarg_preload_length 0
		.amdhsa_user_sgpr_kernarg_preload_offset 0
		.amdhsa_user_sgpr_private_segment_size 0
		.amdhsa_wavefront_size32 1
		.amdhsa_uses_dynamic_stack 0
		.amdhsa_enable_private_segment 1
		.amdhsa_system_sgpr_workgroup_id_x 1
		.amdhsa_system_sgpr_workgroup_id_y 1
		.amdhsa_system_sgpr_workgroup_id_z 0
		.amdhsa_system_sgpr_workgroup_info 0
		.amdhsa_system_vgpr_workitem_id 0
		.amdhsa_next_free_vgpr 120
		.amdhsa_next_free_sgpr 36
		.amdhsa_named_barrier_count 0
		.amdhsa_reserve_vcc 1
		.amdhsa_float_round_mode_32 0
		.amdhsa_float_round_mode_16_64 0
		.amdhsa_float_denorm_mode_32 3
		.amdhsa_float_denorm_mode_16_64 3
		.amdhsa_fp16_overflow 0
		.amdhsa_memory_ordered 1
		.amdhsa_forward_progress 1
		.amdhsa_inst_pref_size 3
		.amdhsa_round_robin_scheduling 0
		.amdhsa_exception_fp_ieee_invalid_op 0
		.amdhsa_exception_fp_denorm_src 0
		.amdhsa_exception_fp_ieee_div_zero 0
		.amdhsa_exception_fp_ieee_overflow 0
		.amdhsa_exception_fp_ieee_underflow 0
		.amdhsa_exception_fp_ieee_inexact 0
		.amdhsa_exception_int_div_zero 0
	.end_amdhsa_kernel
	.section	.text._ZN9rocsolver6v33100L12steqr_kernelIddPdEEviPT0_lS4_lT1_iilPiS4_iS3_S3_S3_,"axG",@progbits,_ZN9rocsolver6v33100L12steqr_kernelIddPdEEviPT0_lS4_lT1_iilPiS4_iS3_S3_S3_,comdat
.Lfunc_end33:
	.size	_ZN9rocsolver6v33100L12steqr_kernelIddPdEEviPT0_lS4_lT1_iilPiS4_iS3_S3_S3_, .Lfunc_end33-_ZN9rocsolver6v33100L12steqr_kernelIddPdEEviPT0_lS4_lT1_iilPiS4_iS3_S3_S3_
                                        ; -- End function
	.set _ZN9rocsolver6v33100L12steqr_kernelIddPdEEviPT0_lS4_lT1_iilPiS4_iS3_S3_S3_.num_vgpr, max(22, .L_ZN9rocsolver6v331009run_steqrIddEEviiiPT0_S3_PT_iPiS3_iS2_S2_S2_b.num_vgpr)
	.set _ZN9rocsolver6v33100L12steqr_kernelIddPdEEviPT0_lS4_lT1_iilPiS4_iS3_S3_S3_.num_agpr, max(0, .L_ZN9rocsolver6v331009run_steqrIddEEviiiPT0_S3_PT_iPiS3_iS2_S2_S2_b.num_agpr)
	.set _ZN9rocsolver6v33100L12steqr_kernelIddPdEEviPT0_lS4_lT1_iilPiS4_iS3_S3_S3_.numbered_sgpr, max(36, .L_ZN9rocsolver6v331009run_steqrIddEEviiiPT0_S3_PT_iPiS3_iS2_S2_S2_b.numbered_sgpr)
	.set _ZN9rocsolver6v33100L12steqr_kernelIddPdEEviPT0_lS4_lT1_iilPiS4_iS3_S3_S3_.num_named_barrier, max(0, .L_ZN9rocsolver6v331009run_steqrIddEEviiiPT0_S3_PT_iPiS3_iS2_S2_S2_b.num_named_barrier)
	.set _ZN9rocsolver6v33100L12steqr_kernelIddPdEEviPT0_lS4_lT1_iilPiS4_iS3_S3_S3_.private_seg_size, 0+max(.L_ZN9rocsolver6v331009run_steqrIddEEviiiPT0_S3_PT_iPiS3_iS2_S2_S2_b.private_seg_size)
	.set _ZN9rocsolver6v33100L12steqr_kernelIddPdEEviPT0_lS4_lT1_iilPiS4_iS3_S3_S3_.uses_vcc, or(1, .L_ZN9rocsolver6v331009run_steqrIddEEviiiPT0_S3_PT_iPiS3_iS2_S2_S2_b.uses_vcc)
	.set _ZN9rocsolver6v33100L12steqr_kernelIddPdEEviPT0_lS4_lT1_iilPiS4_iS3_S3_S3_.uses_flat_scratch, or(0, .L_ZN9rocsolver6v331009run_steqrIddEEviiiPT0_S3_PT_iPiS3_iS2_S2_S2_b.uses_flat_scratch)
	.set _ZN9rocsolver6v33100L12steqr_kernelIddPdEEviPT0_lS4_lT1_iilPiS4_iS3_S3_S3_.has_dyn_sized_stack, or(0, .L_ZN9rocsolver6v331009run_steqrIddEEviiiPT0_S3_PT_iPiS3_iS2_S2_S2_b.has_dyn_sized_stack)
	.set _ZN9rocsolver6v33100L12steqr_kernelIddPdEEviPT0_lS4_lT1_iilPiS4_iS3_S3_S3_.has_recursion, or(0, .L_ZN9rocsolver6v331009run_steqrIddEEviiiPT0_S3_PT_iPiS3_iS2_S2_S2_b.has_recursion)
	.set _ZN9rocsolver6v33100L12steqr_kernelIddPdEEviPT0_lS4_lT1_iilPiS4_iS3_S3_S3_.has_indirect_call, or(0, .L_ZN9rocsolver6v331009run_steqrIddEEviiiPT0_S3_PT_iPiS3_iS2_S2_S2_b.has_indirect_call)
	.section	.AMDGPU.csdata,"",@progbits
; Kernel info:
; codeLenInByte = 360
; TotalNumSgprs: 38
; NumVgprs: 120
; ScratchSize: 156
; MemoryBound: 0
; FloatMode: 240
; IeeeMode: 1
; LDSByteSize: 48 bytes/workgroup (compile time only)
; SGPRBlocks: 0
; VGPRBlocks: 7
; NumSGPRsForWavesPerEU: 38
; NumVGPRsForWavesPerEU: 120
; NamedBarCnt: 0
; Occupancy: 8
; WaveLimiterHint : 0
; COMPUTE_PGM_RSRC2:SCRATCH_EN: 1
; COMPUTE_PGM_RSRC2:USER_SGPR: 2
; COMPUTE_PGM_RSRC2:TRAP_HANDLER: 0
; COMPUTE_PGM_RSRC2:TGID_X_EN: 1
; COMPUTE_PGM_RSRC2:TGID_Y_EN: 1
; COMPUTE_PGM_RSRC2:TGID_Z_EN: 0
; COMPUTE_PGM_RSRC2:TIDIG_COMP_CNT: 0
	.section	.text._ZN9rocsolver6v33100L10init_identIdPdEEviiT0_iil,"axG",@progbits,_ZN9rocsolver6v33100L10init_identIdPdEEviiT0_iil,comdat
	.globl	_ZN9rocsolver6v33100L10init_identIdPdEEviiT0_iil ; -- Begin function _ZN9rocsolver6v33100L10init_identIdPdEEviiT0_iil
	.p2align	8
	.type	_ZN9rocsolver6v33100L10init_identIdPdEEviiT0_iil,@function
_ZN9rocsolver6v33100L10init_identIdPdEEviiT0_iil: ; @_ZN9rocsolver6v33100L10init_identIdPdEEviiT0_iil
; %bb.0:
	s_clause 0x1
	s_load_b32 s5, s[0:1], 0x2c
	s_load_b64 s[2:3], s[0:1], 0x0
	s_bfe_u32 s7, ttmp6, 0x40010
	s_bfe_u32 s10, ttmp6, 0x4000c
	s_and_b32 s6, ttmp7, 0xffff
	s_add_co_i32 s7, s7, 1
	s_add_co_i32 s10, s10, 1
	s_bfe_u32 s8, ttmp6, 0x40004
	s_and_b32 s9, ttmp6, 15
	s_mul_i32 s7, s6, s7
	s_mul_i32 s10, ttmp9, s10
	s_getreg_b32 s4, hwreg(HW_REG_IB_STS2, 6, 4)
	v_and_b32_e32 v1, 0x3ff, v0
	v_bfe_u32 v0, v0, 10, 10
	s_add_co_i32 s8, s8, s7
	s_add_co_i32 s9, s9, s10
	s_wait_kmcnt 0x0
	s_lshr_b32 s7, s5, 16
	s_and_b32 s5, s5, 0xffff
	s_cmp_eq_u32 s4, 0
	s_cselect_b32 s9, ttmp9, s9
	s_cselect_b32 s6, s6, s8
	v_mad_u32 v3, s9, s5, v1
	v_mad_u32 v0, s6, s7, v0
	s_delay_alu instid0(VALU_DEP_2) | instskip(NEXT) | instid1(VALU_DEP_2)
	v_cmp_gt_u32_e32 vcc_lo, s2, v3
	v_cmp_gt_u32_e64 s2, s3, v0
	s_and_b32 s2, vcc_lo, s2
	s_delay_alu instid0(SALU_CYCLE_1)
	s_and_saveexec_b32 s3, s2
	s_cbranch_execz .LBB34_6
; %bb.1:
	s_load_b64 s[2:3], s[0:1], 0x10
	s_mov_b32 s5, exec_lo
                                        ; implicit-def: $vgpr2
	v_cmpx_ne_u32_e64 v3, v0
	s_xor_b32 s5, exec_lo, s5
	s_cbranch_execz .LBB34_3
; %bb.2:
	s_wait_kmcnt 0x0
	v_mad_u32 v2, v0, s3, v3
                                        ; implicit-def: $vgpr3
.LBB34_3:
	s_or_saveexec_b32 s5, s5
	v_mov_b64_e32 v[0:1], 0
	s_xor_b32 exec_lo, exec_lo, s5
	s_cbranch_execz .LBB34_5
; %bb.4:
	s_wait_kmcnt 0x0
	v_mad_u32 v2, v3, s3, v3
	v_mov_b64_e32 v[0:1], 1.0
.LBB34_5:
	s_or_b32 exec_lo, exec_lo, s5
	s_clause 0x1
	s_load_b64 s[6:7], s[0:1], 0x18
	s_load_b64 s[8:9], s[0:1], 0x8
	s_wait_xcnt 0x0
	s_bfe_u32 s0, ttmp6, 0x40014
	s_lshr_b32 s5, ttmp7, 16
	s_add_co_i32 s0, s0, 1
	s_bfe_u32 s1, ttmp6, 0x40008
	s_mul_i32 s0, s5, s0
	s_wait_kmcnt 0x0
	s_ashr_i32 s3, s2, 31
	s_add_co_i32 s0, s1, s0
	s_cmp_eq_u32 s4, 0
	s_mov_b32 s1, 0
	s_cselect_b32 s0, s5, s0
	s_lshl_b64 s[2:3], s[2:3], 3
	s_mul_u64 s[0:1], s[6:7], s[0:1]
	s_delay_alu instid0(SALU_CYCLE_1) | instskip(NEXT) | instid1(SALU_CYCLE_1)
	s_lshl_b64 s[0:1], s[0:1], 3
	s_add_nc_u64 s[0:1], s[8:9], s[0:1]
	s_delay_alu instid0(SALU_CYCLE_1)
	s_add_nc_u64 s[0:1], s[0:1], s[2:3]
	global_store_b64 v2, v[0:1], s[0:1] scale_offset
.LBB34_6:
	s_endpgm
	.section	.rodata,"a",@progbits
	.p2align	6, 0x0
	.amdhsa_kernel _ZN9rocsolver6v33100L10init_identIdPdEEviiT0_iil
		.amdhsa_group_segment_fixed_size 0
		.amdhsa_private_segment_fixed_size 0
		.amdhsa_kernarg_size 288
		.amdhsa_user_sgpr_count 2
		.amdhsa_user_sgpr_dispatch_ptr 0
		.amdhsa_user_sgpr_queue_ptr 0
		.amdhsa_user_sgpr_kernarg_segment_ptr 1
		.amdhsa_user_sgpr_dispatch_id 0
		.amdhsa_user_sgpr_kernarg_preload_length 0
		.amdhsa_user_sgpr_kernarg_preload_offset 0
		.amdhsa_user_sgpr_private_segment_size 0
		.amdhsa_wavefront_size32 1
		.amdhsa_uses_dynamic_stack 0
		.amdhsa_enable_private_segment 0
		.amdhsa_system_sgpr_workgroup_id_x 1
		.amdhsa_system_sgpr_workgroup_id_y 1
		.amdhsa_system_sgpr_workgroup_id_z 1
		.amdhsa_system_sgpr_workgroup_info 0
		.amdhsa_system_vgpr_workitem_id 1
		.amdhsa_next_free_vgpr 4
		.amdhsa_next_free_sgpr 11
		.amdhsa_named_barrier_count 0
		.amdhsa_reserve_vcc 1
		.amdhsa_float_round_mode_32 0
		.amdhsa_float_round_mode_16_64 0
		.amdhsa_float_denorm_mode_32 3
		.amdhsa_float_denorm_mode_16_64 3
		.amdhsa_fp16_overflow 0
		.amdhsa_memory_ordered 1
		.amdhsa_forward_progress 1
		.amdhsa_inst_pref_size 3
		.amdhsa_round_robin_scheduling 0
		.amdhsa_exception_fp_ieee_invalid_op 0
		.amdhsa_exception_fp_denorm_src 0
		.amdhsa_exception_fp_ieee_div_zero 0
		.amdhsa_exception_fp_ieee_overflow 0
		.amdhsa_exception_fp_ieee_underflow 0
		.amdhsa_exception_fp_ieee_inexact 0
		.amdhsa_exception_int_div_zero 0
	.end_amdhsa_kernel
	.section	.text._ZN9rocsolver6v33100L10init_identIdPdEEviiT0_iil,"axG",@progbits,_ZN9rocsolver6v33100L10init_identIdPdEEviiT0_iil,comdat
.Lfunc_end34:
	.size	_ZN9rocsolver6v33100L10init_identIdPdEEviiT0_iil, .Lfunc_end34-_ZN9rocsolver6v33100L10init_identIdPdEEviiT0_iil
                                        ; -- End function
	.set _ZN9rocsolver6v33100L10init_identIdPdEEviiT0_iil.num_vgpr, 4
	.set _ZN9rocsolver6v33100L10init_identIdPdEEviiT0_iil.num_agpr, 0
	.set _ZN9rocsolver6v33100L10init_identIdPdEEviiT0_iil.numbered_sgpr, 11
	.set _ZN9rocsolver6v33100L10init_identIdPdEEviiT0_iil.num_named_barrier, 0
	.set _ZN9rocsolver6v33100L10init_identIdPdEEviiT0_iil.private_seg_size, 0
	.set _ZN9rocsolver6v33100L10init_identIdPdEEviiT0_iil.uses_vcc, 1
	.set _ZN9rocsolver6v33100L10init_identIdPdEEviiT0_iil.uses_flat_scratch, 0
	.set _ZN9rocsolver6v33100L10init_identIdPdEEviiT0_iil.has_dyn_sized_stack, 0
	.set _ZN9rocsolver6v33100L10init_identIdPdEEviiT0_iil.has_recursion, 0
	.set _ZN9rocsolver6v33100L10init_identIdPdEEviiT0_iil.has_indirect_call, 0
	.section	.AMDGPU.csdata,"",@progbits
; Kernel info:
; codeLenInByte = 372
; TotalNumSgprs: 13
; NumVgprs: 4
; ScratchSize: 0
; MemoryBound: 0
; FloatMode: 240
; IeeeMode: 1
; LDSByteSize: 0 bytes/workgroup (compile time only)
; SGPRBlocks: 0
; VGPRBlocks: 0
; NumSGPRsForWavesPerEU: 13
; NumVGPRsForWavesPerEU: 4
; NamedBarCnt: 0
; Occupancy: 16
; WaveLimiterHint : 0
; COMPUTE_PGM_RSRC2:SCRATCH_EN: 0
; COMPUTE_PGM_RSRC2:USER_SGPR: 2
; COMPUTE_PGM_RSRC2:TRAP_HANDLER: 0
; COMPUTE_PGM_RSRC2:TGID_X_EN: 1
; COMPUTE_PGM_RSRC2:TGID_Y_EN: 1
; COMPUTE_PGM_RSRC2:TGID_Z_EN: 1
; COMPUTE_PGM_RSRC2:TIDIG_COMP_CNT: 1
	.section	.text._ZN9rocsolver6v33100L19stedc_divide_kernelIdEEviiiPT_lS3_liPi,"axG",@progbits,_ZN9rocsolver6v33100L19stedc_divide_kernelIdEEviiiPT_lS3_liPi,comdat
	.globl	_ZN9rocsolver6v33100L19stedc_divide_kernelIdEEviiiPT_lS3_liPi ; -- Begin function _ZN9rocsolver6v33100L19stedc_divide_kernelIdEEviiiPT_lS3_liPi
	.p2align	8
	.type	_ZN9rocsolver6v33100L19stedc_divide_kernelIdEEviiiPT_lS3_liPi,@function
_ZN9rocsolver6v33100L19stedc_divide_kernelIdEEviiiPT_lS3_liPi: ; @_ZN9rocsolver6v33100L19stedc_divide_kernelIdEEviiiPT_lS3_liPi
; %bb.0:
	s_clause 0x1
	s_load_b32 s2, s[0:1], 0x4c
	s_load_b32 s3, s[0:1], 0x30
	s_bfe_u32 s4, ttmp6, 0x4000c
	s_and_b32 s5, ttmp6, 15
	s_add_co_i32 s4, s4, 1
	s_getreg_b32 s6, hwreg(HW_REG_IB_STS2, 6, 4)
	s_mul_i32 s4, ttmp9, s4
	s_delay_alu instid0(SALU_CYCLE_1) | instskip(SKIP_4) | instid1(SALU_CYCLE_1)
	s_add_co_i32 s5, s5, s4
	s_wait_kmcnt 0x0
	s_and_b32 s2, s2, 0xffff
	s_cmp_eq_u32 s6, 0
	s_cselect_b32 s4, ttmp9, s5
	v_mad_u32 v2, s4, s2, v0
	s_mov_b32 s2, exec_lo
	s_delay_alu instid0(VALU_DEP_1)
	v_cmpx_gt_i32_e64 s3, v2
	s_cbranch_execz .LBB35_10
; %bb.1:
	s_clause 0x1
	s_load_b96 s[4:6], s[0:1], 0x0
	s_load_b64 s[2:3], s[0:1], 0x38
	s_wait_kmcnt 0x0
	s_mul_i32 s7, s6, 13
	s_cmp_lt_i32 s4, 1
	v_mul_lo_u32 v4, s7, v2
	s_delay_alu instid0(VALU_DEP_1)
	v_dual_mov_b32 v3, s6 :: v_dual_ashrrev_i32 v5, 31, v4
	global_store_b32 v4, v3, s[2:3] scale_offset
	v_lshl_add_u64 v[0:1], v[4:5], 2, s[2:3]
	s_cbranch_scc1 .LBB35_7
; %bb.2:
	s_wait_xcnt 0x0
	v_lshl_add_u64 v[4:5], v[4:5], 2, s[2:3]
	s_mov_b32 s3, 0
	s_mov_b32 s7, 0
	s_delay_alu instid0(VALU_DEP_1)
	v_add_nc_u64_e32 v[4:5], -4, v[4:5]
	s_branch .LBB35_4
.LBB35_3:                               ;   in Loop: Header=BB35_4 Depth=1
	s_add_co_i32 s7, s7, 1
	s_delay_alu instid0(SALU_CYCLE_1)
	s_cmp_eq_u32 s7, s4
	s_cbranch_scc1 .LBB35_7
.LBB35_4:                               ; =>This Loop Header: Depth=1
                                        ;     Child Loop BB35_6 Depth 2
	s_cmp_eq_u32 s7, 31
	s_cbranch_scc1 .LBB35_3
; %bb.5:                                ;   in Loop: Header=BB35_4 Depth=1
	s_lshl_b32 s2, 1, s7
	s_delay_alu instid0(VALU_DEP_1) | instid1(SALU_CYCLE_1)
	v_lshl_add_u64 v[6:7], s[2:3], 2, v[4:5]
	s_add_co_i32 s8, s2, 1
	s_lshl_b32 s2, s2, 1
.LBB35_6:                               ;   Parent Loop BB35_4 Depth=1
                                        ; =>  This Inner Loop Header: Depth=2
	global_load_b32 v3, v[6:7], off
	s_wait_xcnt 0x0
	v_add_nc_u64_e32 v[6:7], -4, v[6:7]
	v_lshl_add_u64 v[10:11], s[2:3], 2, v[0:1]
	s_add_co_i32 s8, s8, -1
	s_add_co_i32 s2, s2, -2
	s_cmp_lt_u32 s8, 2
	s_wait_loadcnt 0x0
	v_lshrrev_b32_e32 v8, 31, v3
	s_delay_alu instid0(VALU_DEP_1) | instskip(NEXT) | instid1(VALU_DEP_1)
	v_dual_add_nc_u32 v8, v3, v8 :: v_dual_bitop2_b32 v3, 1, v3 bitop3:0x40
	v_ashrrev_i32_e32 v8, 1, v8
	s_delay_alu instid0(VALU_DEP_1)
	v_add_nc_u32_e32 v9, v8, v3
	global_store_b64 v[10:11], v[8:9], off offset:-8
	s_cbranch_scc0 .LBB35_6
	s_branch .LBB35_3
.LBB35_7:
	s_wait_xcnt 0x0
	s_ashr_i32 s3, s6, 31
	s_mov_b32 s2, s6
	v_mov_b32_e32 v4, 0
	v_lshl_add_u64 v[6:7], s[2:3], 2, v[0:1]
	s_cmp_lt_i32 s5, 2
	global_store_b32 v[6:7], v4, off
	s_cbranch_scc1 .LBB35_10
; %bb.8:
	s_load_b256 s[8:15], s[0:1], 0x10
	v_ashrrev_i32_e32 v3, 31, v2
	s_wait_xcnt 0x0
	s_lshl_b64 s[0:1], s[2:3], 2
	s_add_co_i32 s2, s5, -1
	s_add_nc_u64 s[0:1], s[0:1], 4
	s_wait_kmcnt 0x0
	v_mul_u64_e32 v[6:7], s[10:11], v[2:3]
	v_mul_u64_e32 v[8:9], s[14:15], v[2:3]
	s_delay_alu instid0(VALU_DEP_2) | instskip(NEXT) | instid1(VALU_DEP_2)
	v_lshl_add_u64 v[2:3], v[6:7], 3, s[8:9]
	v_lshl_add_u64 v[6:7], v[8:9], 3, s[12:13]
.LBB35_9:                               ; =>This Inner Loop Header: Depth=1
	global_load_b32 v5, v[0:1], off
	s_add_co_i32 s2, s2, -1
	s_delay_alu instid0(SALU_CYCLE_1) | instskip(SKIP_3) | instid1(VALU_DEP_1)
	s_cmp_lg_u32 s2, 0
	s_wait_loadcnt 0x0
	s_wait_xcnt 0x2
	v_add_nc_u32_e32 v4, v5, v4
	v_ashrrev_i32_e32 v5, 31, v4
	s_wait_xcnt 0x1
	s_delay_alu instid0(VALU_DEP_1) | instskip(NEXT) | instid1(VALU_DEP_1)
	v_lshlrev_b64_e32 v[8:9], 3, v[4:5]
	v_add_nc_u64_e32 v[12:13], v[6:7], v[8:9]
	v_add_nc_u64_e32 v[14:15], v[2:3], v[8:9]
	global_load_b64 v[16:17], v[12:13], off offset:-8
	global_load_b128 v[8:11], v[14:15], off offset:-8
	s_wait_xcnt 0x1
	v_add_nc_u64_e32 v[12:13], s[0:1], v[0:1]
	v_add_nc_u64_e32 v[0:1], 4, v[0:1]
	s_wait_loadcnt 0x0
	v_add_f64_e64 v[10:11], v[10:11], -v[16:17]
	v_add_f64_e64 v[8:9], v[8:9], -v[16:17]
	global_store_b32 v[12:13], v4, off
	global_store_b128 v[14:15], v[8:11], off offset:-8
	s_cbranch_scc1 .LBB35_9
.LBB35_10:
	s_endpgm
	.section	.rodata,"a",@progbits
	.p2align	6, 0x0
	.amdhsa_kernel _ZN9rocsolver6v33100L19stedc_divide_kernelIdEEviiiPT_lS3_liPi
		.amdhsa_group_segment_fixed_size 0
		.amdhsa_private_segment_fixed_size 0
		.amdhsa_kernarg_size 320
		.amdhsa_user_sgpr_count 2
		.amdhsa_user_sgpr_dispatch_ptr 0
		.amdhsa_user_sgpr_queue_ptr 0
		.amdhsa_user_sgpr_kernarg_segment_ptr 1
		.amdhsa_user_sgpr_dispatch_id 0
		.amdhsa_user_sgpr_kernarg_preload_length 0
		.amdhsa_user_sgpr_kernarg_preload_offset 0
		.amdhsa_user_sgpr_private_segment_size 0
		.amdhsa_wavefront_size32 1
		.amdhsa_uses_dynamic_stack 0
		.amdhsa_enable_private_segment 0
		.amdhsa_system_sgpr_workgroup_id_x 1
		.amdhsa_system_sgpr_workgroup_id_y 0
		.amdhsa_system_sgpr_workgroup_id_z 0
		.amdhsa_system_sgpr_workgroup_info 0
		.amdhsa_system_vgpr_workitem_id 0
		.amdhsa_next_free_vgpr 18
		.amdhsa_next_free_sgpr 16
		.amdhsa_named_barrier_count 0
		.amdhsa_reserve_vcc 0
		.amdhsa_float_round_mode_32 0
		.amdhsa_float_round_mode_16_64 0
		.amdhsa_float_denorm_mode_32 3
		.amdhsa_float_denorm_mode_16_64 3
		.amdhsa_fp16_overflow 0
		.amdhsa_memory_ordered 1
		.amdhsa_forward_progress 1
		.amdhsa_inst_pref_size 5
		.amdhsa_round_robin_scheduling 0
		.amdhsa_exception_fp_ieee_invalid_op 0
		.amdhsa_exception_fp_denorm_src 0
		.amdhsa_exception_fp_ieee_div_zero 0
		.amdhsa_exception_fp_ieee_overflow 0
		.amdhsa_exception_fp_ieee_underflow 0
		.amdhsa_exception_fp_ieee_inexact 0
		.amdhsa_exception_int_div_zero 0
	.end_amdhsa_kernel
	.section	.text._ZN9rocsolver6v33100L19stedc_divide_kernelIdEEviiiPT_lS3_liPi,"axG",@progbits,_ZN9rocsolver6v33100L19stedc_divide_kernelIdEEviiiPT_lS3_liPi,comdat
.Lfunc_end35:
	.size	_ZN9rocsolver6v33100L19stedc_divide_kernelIdEEviiiPT_lS3_liPi, .Lfunc_end35-_ZN9rocsolver6v33100L19stedc_divide_kernelIdEEviiiPT_lS3_liPi
                                        ; -- End function
	.set _ZN9rocsolver6v33100L19stedc_divide_kernelIdEEviiiPT_lS3_liPi.num_vgpr, 18
	.set _ZN9rocsolver6v33100L19stedc_divide_kernelIdEEviiiPT_lS3_liPi.num_agpr, 0
	.set _ZN9rocsolver6v33100L19stedc_divide_kernelIdEEviiiPT_lS3_liPi.numbered_sgpr, 16
	.set _ZN9rocsolver6v33100L19stedc_divide_kernelIdEEviiiPT_lS3_liPi.num_named_barrier, 0
	.set _ZN9rocsolver6v33100L19stedc_divide_kernelIdEEviiiPT_lS3_liPi.private_seg_size, 0
	.set _ZN9rocsolver6v33100L19stedc_divide_kernelIdEEviiiPT_lS3_liPi.uses_vcc, 0
	.set _ZN9rocsolver6v33100L19stedc_divide_kernelIdEEviiiPT_lS3_liPi.uses_flat_scratch, 0
	.set _ZN9rocsolver6v33100L19stedc_divide_kernelIdEEviiiPT_lS3_liPi.has_dyn_sized_stack, 0
	.set _ZN9rocsolver6v33100L19stedc_divide_kernelIdEEviiiPT_lS3_liPi.has_recursion, 0
	.set _ZN9rocsolver6v33100L19stedc_divide_kernelIdEEviiiPT_lS3_liPi.has_indirect_call, 0
	.section	.AMDGPU.csdata,"",@progbits
; Kernel info:
; codeLenInByte = 608
; TotalNumSgprs: 16
; NumVgprs: 18
; ScratchSize: 0
; MemoryBound: 0
; FloatMode: 240
; IeeeMode: 1
; LDSByteSize: 0 bytes/workgroup (compile time only)
; SGPRBlocks: 0
; VGPRBlocks: 1
; NumSGPRsForWavesPerEU: 16
; NumVGPRsForWavesPerEU: 18
; NamedBarCnt: 0
; Occupancy: 16
; WaveLimiterHint : 1
; COMPUTE_PGM_RSRC2:SCRATCH_EN: 0
; COMPUTE_PGM_RSRC2:USER_SGPR: 2
; COMPUTE_PGM_RSRC2:TRAP_HANDLER: 0
; COMPUTE_PGM_RSRC2:TGID_X_EN: 1
; COMPUTE_PGM_RSRC2:TGID_Y_EN: 0
; COMPUTE_PGM_RSRC2:TGID_Z_EN: 0
; COMPUTE_PGM_RSRC2:TIDIG_COMP_CNT: 0
	.section	.text._ZN9rocsolver6v33100L18stedc_solve_kernelIdEEviiPT_lS3_lS3_iilPiS3_S4_S2_S2_S2_,"axG",@progbits,_ZN9rocsolver6v33100L18stedc_solve_kernelIdEEviiPT_lS3_lS3_iilPiS3_S4_S2_S2_S2_,comdat
	.globl	_ZN9rocsolver6v33100L18stedc_solve_kernelIdEEviiPT_lS3_lS3_iilPiS3_S4_S2_S2_S2_ ; -- Begin function _ZN9rocsolver6v33100L18stedc_solve_kernelIdEEviiPT_lS3_lS3_iilPiS3_S4_S2_S2_S2_
	.p2align	8
	.type	_ZN9rocsolver6v33100L18stedc_solve_kernelIdEEviiPT_lS3_lS3_iilPiS3_S4_S2_S2_S2_,@function
_ZN9rocsolver6v33100L18stedc_solve_kernelIdEEviiPT_lS3_lS3_iilPiS3_S4_S2_S2_S2_: ; @_ZN9rocsolver6v33100L18stedc_solve_kernelIdEEviiPT_lS3_lS3_iilPiS3_S4_S2_S2_S2_
; %bb.0:
	s_clause 0x3
	s_load_b32 s2, s[0:1], 0x4
	s_load_b32 s8, s[0:1], 0x7c
	s_load_b128 s[4:7], s[0:1], 0x28
	s_load_b256 s[12:19], s[0:1], 0x38
	s_bfe_u32 s9, ttmp6, 0x4000c
	s_bfe_u32 s10, ttmp6, 0x40010
	s_add_co_i32 s9, s9, 1
	s_add_co_i32 s10, s10, 1
	s_and_b32 s3, ttmp6, 15
	s_bfe_u32 s11, ttmp6, 0x40004
	s_mul_i32 s9, ttmp9, s9
	s_mul_i32 s10, ttmp7, s10
	s_getreg_b32 s20, hwreg(HW_REG_IB_STS2, 6, 4)
	s_add_co_i32 s9, s3, s9
	s_add_co_i32 s10, s11, s10
	s_mov_b32 s32, 0
	v_mov_b32_e32 v21, 0
	s_wait_kmcnt 0x0
	s_ashr_i32 s3, s2, 31
	s_and_b32 s33, s8, 0xffff
	s_ashr_i32 s11, s6, 31
	s_cmp_eq_u32 s20, 0
	s_load_b256 s[20:27], s[0:1], 0x8
	s_cselect_b32 s34, ttmp7, s10
	s_cselect_b32 s10, ttmp9, s9
	s_mul_i32 s36, s34, s2
	v_mov_b32_e32 v1, s10
	s_mul_i32 s8, s36, 13
	s_lshl_b64 s[2:3], s[2:3], 2
	s_ashr_i32 s9, s8, 31
	s_mov_b32 s10, s6
	s_lshl_b64 s[8:9], s[8:9], 2
	s_ashr_i32 s35, s34, 31
	s_add_nc_u64 s[8:9], s[18:19], s[8:9]
	s_delay_alu instid0(SALU_CYCLE_1)
	s_add_nc_u64 s[2:3], s[8:9], s[2:3]
	s_clause 0x1
	global_load_b32 v4, v1, s[2:3] scale_offset
	global_load_b32 v2, v1, s[8:9] scale_offset
	s_clause 0x1
	s_load_b64 s[18:19], s[0:1], 0x68
	s_load_b128 s[28:31], s[0:1], 0x58
	s_add_nc_u64 s[8:9], s[0:1], 0x70
	s_wait_xcnt 0x0
	s_lshl_b64 s[0:1], s[10:11], 3
	s_mul_u64 s[10:11], s[12:13], s[34:35]
	s_wait_kmcnt 0x0
	s_mul_u64 s[12:13], s[22:23], s[34:35]
	s_lshl_b64 s[10:11], s[10:11], 3
	s_mul_u64 s[22:23], s[26:27], s[34:35]
	s_add_nc_u64 s[4:5], s[4:5], s[10:11]
	s_lshl_b64 s[12:13], s[12:13], 3
	s_add_nc_u64 s[0:1], s[4:5], s[0:1]
	s_lshl_b64 s[22:23], s[22:23], 3
	s_lshl_b64 s[26:27], s[34:35], 2
	s_lshl_b32 s34, s36, 1
	s_add_nc_u64 s[10:11], s[20:21], s[12:13]
	s_add_nc_u64 s[12:13], s[24:25], s[22:23]
	s_ashr_i32 s35, s34, 31
	s_add_nc_u64 s[14:15], s[14:15], s[26:27]
	s_lshl_b64 s[20:21], s[34:35], 3
	v_dual_mov_b32 v1, s33 :: v_dual_mov_b32 v19, s18
	v_dual_mov_b32 v20, s19 :: v_dual_mov_b32 v15, s28
	;; [unrolled: 1-line block ×3, first 2 shown]
	v_mov_b32_e32 v18, s31
	s_get_pc_i64 s[2:3]
	s_add_nc_u64 s[2:3], s[2:3], _ZN9rocsolver6v331009run_steqrIddEEviiiPT0_S3_PT_iPiS3_iS2_S2_S2_b@rel64+4
	s_wait_loadcnt 0x1
	v_mul_lo_u32 v6, v4, s7
	v_dual_ashrrev_i32 v5, 31, v4 :: v_dual_lshlrev_b32 v8, 1, v4
	s_wait_loadcnt 0x0
	v_mul_lo_u32 v14, v2, 30
	s_delay_alu instid0(VALU_DEP_2) | instskip(NEXT) | instid1(VALU_DEP_3)
	v_lshlrev_b64_e32 v[4:5], 3, v[4:5]
	v_dual_ashrrev_i32 v7, 31, v6 :: v_dual_ashrrev_i32 v9, 31, v8
	s_delay_alu instid0(VALU_DEP_2) | instskip(SKIP_2) | instid1(VALU_DEP_4)
	v_add_nc_u64_e32 v[10:11], s[0:1], v[4:5]
	v_add_nc_u64_e32 v[22:23], s[10:11], v[4:5]
	;; [unrolled: 1-line block ×3, first 2 shown]
	v_lshlrev_b64_e32 v[6:7], 3, v[6:7]
	v_lshlrev_b64_e32 v[8:9], 3, v[8:9]
	s_add_nc_u64 s[0:1], s[16:17], s[20:21]
	s_delay_alu instid0(VALU_DEP_4) | instskip(NEXT) | instid1(VALU_DEP_4)
	v_dual_mov_b32 v3, v22 :: v_dual_mov_b32 v4, v23
	v_mov_b32_e32 v5, v24
	s_delay_alu instid0(VALU_DEP_4) | instskip(NEXT) | instid1(VALU_DEP_4)
	v_add_nc_u64_e32 v[26:27], v[10:11], v[6:7]
	v_add_nc_u64_e32 v[12:13], s[0:1], v[8:9]
	v_dual_mov_b32 v9, s7 :: v_dual_mov_b32 v10, s14
	v_dual_mov_b32 v11, s15 :: v_dual_mov_b32 v6, v25
	s_mov_b32 s15, 1
	s_delay_alu instid0(VALU_DEP_4)
	v_dual_mov_b32 v7, v26 :: v_dual_mov_b32 v8, v27
	s_swap_pc_i64 s[30:31], s[2:3]
	s_endpgm
	.section	.rodata,"a",@progbits
	.p2align	6, 0x0
	.amdhsa_kernel _ZN9rocsolver6v33100L18stedc_solve_kernelIdEEviiPT_lS3_lS3_iilPiS3_S4_S2_S2_S2_
		.amdhsa_group_segment_fixed_size 48
		.amdhsa_private_segment_fixed_size 156
		.amdhsa_kernarg_size 368
		.amdhsa_user_sgpr_count 2
		.amdhsa_user_sgpr_dispatch_ptr 0
		.amdhsa_user_sgpr_queue_ptr 0
		.amdhsa_user_sgpr_kernarg_segment_ptr 1
		.amdhsa_user_sgpr_dispatch_id 0
		.amdhsa_user_sgpr_kernarg_preload_length 0
		.amdhsa_user_sgpr_kernarg_preload_offset 0
		.amdhsa_user_sgpr_private_segment_size 0
		.amdhsa_wavefront_size32 1
		.amdhsa_uses_dynamic_stack 0
		.amdhsa_enable_private_segment 1
		.amdhsa_system_sgpr_workgroup_id_x 1
		.amdhsa_system_sgpr_workgroup_id_y 1
		.amdhsa_system_sgpr_workgroup_id_z 0
		.amdhsa_system_sgpr_workgroup_info 0
		.amdhsa_system_vgpr_workitem_id 0
		.amdhsa_next_free_vgpr 120
		.amdhsa_next_free_sgpr 37
		.amdhsa_named_barrier_count 0
		.amdhsa_reserve_vcc 1
		.amdhsa_float_round_mode_32 0
		.amdhsa_float_round_mode_16_64 0
		.amdhsa_float_denorm_mode_32 3
		.amdhsa_float_denorm_mode_16_64 3
		.amdhsa_fp16_overflow 0
		.amdhsa_memory_ordered 1
		.amdhsa_forward_progress 1
		.amdhsa_inst_pref_size 4
		.amdhsa_round_robin_scheduling 0
		.amdhsa_exception_fp_ieee_invalid_op 0
		.amdhsa_exception_fp_denorm_src 0
		.amdhsa_exception_fp_ieee_div_zero 0
		.amdhsa_exception_fp_ieee_overflow 0
		.amdhsa_exception_fp_ieee_underflow 0
		.amdhsa_exception_fp_ieee_inexact 0
		.amdhsa_exception_int_div_zero 0
	.end_amdhsa_kernel
	.section	.text._ZN9rocsolver6v33100L18stedc_solve_kernelIdEEviiPT_lS3_lS3_iilPiS3_S4_S2_S2_S2_,"axG",@progbits,_ZN9rocsolver6v33100L18stedc_solve_kernelIdEEviiPT_lS3_lS3_iilPiS3_S4_S2_S2_S2_,comdat
.Lfunc_end36:
	.size	_ZN9rocsolver6v33100L18stedc_solve_kernelIdEEviiPT_lS3_lS3_iilPiS3_S4_S2_S2_S2_, .Lfunc_end36-_ZN9rocsolver6v33100L18stedc_solve_kernelIdEEviiPT_lS3_lS3_iilPiS3_S4_S2_S2_S2_
                                        ; -- End function
	.set _ZN9rocsolver6v33100L18stedc_solve_kernelIdEEviiPT_lS3_lS3_iilPiS3_S4_S2_S2_S2_.num_vgpr, max(28, .L_ZN9rocsolver6v331009run_steqrIddEEviiiPT0_S3_PT_iPiS3_iS2_S2_S2_b.num_vgpr)
	.set _ZN9rocsolver6v33100L18stedc_solve_kernelIdEEviiPT_lS3_lS3_iilPiS3_S4_S2_S2_S2_.num_agpr, max(0, .L_ZN9rocsolver6v331009run_steqrIddEEviiiPT0_S3_PT_iPiS3_iS2_S2_S2_b.num_agpr)
	.set _ZN9rocsolver6v33100L18stedc_solve_kernelIdEEviiPT_lS3_lS3_iilPiS3_S4_S2_S2_S2_.numbered_sgpr, max(37, .L_ZN9rocsolver6v331009run_steqrIddEEviiiPT0_S3_PT_iPiS3_iS2_S2_S2_b.numbered_sgpr)
	.set _ZN9rocsolver6v33100L18stedc_solve_kernelIdEEviiPT_lS3_lS3_iilPiS3_S4_S2_S2_S2_.num_named_barrier, max(0, .L_ZN9rocsolver6v331009run_steqrIddEEviiiPT0_S3_PT_iPiS3_iS2_S2_S2_b.num_named_barrier)
	.set _ZN9rocsolver6v33100L18stedc_solve_kernelIdEEviiPT_lS3_lS3_iilPiS3_S4_S2_S2_S2_.private_seg_size, 0+max(.L_ZN9rocsolver6v331009run_steqrIddEEviiiPT0_S3_PT_iPiS3_iS2_S2_S2_b.private_seg_size)
	.set _ZN9rocsolver6v33100L18stedc_solve_kernelIdEEviiPT_lS3_lS3_iilPiS3_S4_S2_S2_S2_.uses_vcc, or(1, .L_ZN9rocsolver6v331009run_steqrIddEEviiiPT0_S3_PT_iPiS3_iS2_S2_S2_b.uses_vcc)
	.set _ZN9rocsolver6v33100L18stedc_solve_kernelIdEEviiPT_lS3_lS3_iilPiS3_S4_S2_S2_S2_.uses_flat_scratch, or(0, .L_ZN9rocsolver6v331009run_steqrIddEEviiiPT0_S3_PT_iPiS3_iS2_S2_S2_b.uses_flat_scratch)
	.set _ZN9rocsolver6v33100L18stedc_solve_kernelIdEEviiPT_lS3_lS3_iilPiS3_S4_S2_S2_S2_.has_dyn_sized_stack, or(0, .L_ZN9rocsolver6v331009run_steqrIddEEviiiPT0_S3_PT_iPiS3_iS2_S2_S2_b.has_dyn_sized_stack)
	.set _ZN9rocsolver6v33100L18stedc_solve_kernelIdEEviiPT_lS3_lS3_iilPiS3_S4_S2_S2_S2_.has_recursion, or(0, .L_ZN9rocsolver6v331009run_steqrIddEEviiiPT0_S3_PT_iPiS3_iS2_S2_S2_b.has_recursion)
	.set _ZN9rocsolver6v33100L18stedc_solve_kernelIdEEviiPT_lS3_lS3_iilPiS3_S4_S2_S2_S2_.has_indirect_call, or(0, .L_ZN9rocsolver6v331009run_steqrIddEEviiiPT0_S3_PT_iPiS3_iS2_S2_S2_b.has_indirect_call)
	.section	.AMDGPU.csdata,"",@progbits
; Kernel info:
; codeLenInByte = 512
; TotalNumSgprs: 39
; NumVgprs: 120
; ScratchSize: 156
; MemoryBound: 0
; FloatMode: 240
; IeeeMode: 1
; LDSByteSize: 48 bytes/workgroup (compile time only)
; SGPRBlocks: 0
; VGPRBlocks: 7
; NumSGPRsForWavesPerEU: 39
; NumVGPRsForWavesPerEU: 120
; NamedBarCnt: 0
; Occupancy: 8
; WaveLimiterHint : 0
; COMPUTE_PGM_RSRC2:SCRATCH_EN: 1
; COMPUTE_PGM_RSRC2:USER_SGPR: 2
; COMPUTE_PGM_RSRC2:TRAP_HANDLER: 0
; COMPUTE_PGM_RSRC2:TGID_X_EN: 1
; COMPUTE_PGM_RSRC2:TGID_Y_EN: 1
; COMPUTE_PGM_RSRC2:TGID_Z_EN: 0
; COMPUTE_PGM_RSRC2:TIDIG_COMP_CNT: 0
	.section	.text._ZN9rocsolver6v33100L37stedc_mergePrepare_DeflateZero_kernelIdEEviiPT_lS3_lS3_iilS3_PiS2_,"axG",@progbits,_ZN9rocsolver6v33100L37stedc_mergePrepare_DeflateZero_kernelIdEEviiPT_lS3_lS3_iilS3_PiS2_,comdat
	.globl	_ZN9rocsolver6v33100L37stedc_mergePrepare_DeflateZero_kernelIdEEviiPT_lS3_lS3_iilS3_PiS2_ ; -- Begin function _ZN9rocsolver6v33100L37stedc_mergePrepare_DeflateZero_kernelIdEEviiPT_lS3_lS3_iilS3_PiS2_
	.p2align	8
	.type	_ZN9rocsolver6v33100L37stedc_mergePrepare_DeflateZero_kernelIdEEviiPT_lS3_lS3_iilS3_PiS2_,@function
_ZN9rocsolver6v33100L37stedc_mergePrepare_DeflateZero_kernelIdEEviiPT_lS3_lS3_iilS3_PiS2_: ; @_ZN9rocsolver6v33100L37stedc_mergePrepare_DeflateZero_kernelIdEEviiPT_lS3_lS3_iilS3_PiS2_
; %bb.0:
	s_clause 0x1
	s_load_b32 s20, s[0:1], 0x4
	s_load_b256 s[4:11], s[0:1], 0x38
	s_bfe_u32 s13, ttmp6, 0x4000c
	s_bfe_u32 s14, ttmp6, 0x40010
	s_add_co_i32 s13, s13, 1
	s_add_co_i32 s14, s14, 1
	s_and_b32 s12, ttmp6, 15
	s_bfe_u32 s15, ttmp6, 0x40004
	s_mul_i32 s13, ttmp9, s13
	s_mul_i32 s14, ttmp7, s14
	s_getreg_b32 s16, hwreg(HW_REG_IB_STS2, 6, 4)
	s_add_co_i32 s12, s12, s13
	s_add_co_i32 s15, s15, s14
	s_mov_b64 s[2:3], 0xffffffffffffffe8
	s_wait_kmcnt 0x0
	s_ashr_i32 s21, s20, 31
	s_cmp_eq_u32 s16, 0
	s_mul_u64 s[2:3], s[20:21], s[2:3]
	s_cselect_b32 s24, ttmp7, s15
	s_cselect_b32 s18, ttmp9, s12
	s_mul_i32 s30, s20, s24
	s_lshl_b32 s12, s20, 3
	s_mul_i32 s14, s30, 13
	s_ashr_i32 s13, s12, 31
	s_ashr_i32 s15, s14, 31
	s_lshl_b64 s[12:13], s[12:13], 2
	s_lshl_b64 s[14:15], s[14:15], 2
	;; [unrolled: 1-line block ×3, first 2 shown]
	s_add_nc_u64 s[8:9], s[8:9], s[14:15]
	s_lshl_b32 s14, s18, 1
	s_add_nc_u64 s[8:9], s[8:9], s[12:13]
	s_ashr_i32 s15, s14, 31
	s_add_nc_u64 s[2:3], s[8:9], s[2:3]
	s_lshl_b64 s[26:27], s[14:15], 2
	s_add_nc_u64 s[22:23], s[2:3], s[16:17]
	s_load_b256 s[12:19], s[0:1], 0x8
	s_add_nc_u64 s[28:29], s[22:23], s[26:27]
	s_ashr_i32 s25, s24, 31
	s_load_b64 s[22:23], s[28:29], 0x0
	s_add_nc_u64 s[2:3], s[2:3], s[26:27]
	s_wait_kmcnt 0x0
	s_mul_u64 s[18:19], s[18:19], s[24:25]
	s_delay_alu instid0(SALU_CYCLE_1) | instskip(SKIP_4) | instid1(SALU_CYCLE_1)
	s_lshl_b64 s[28:29], s[18:19], 3
	s_ashr_i32 s19, s23, 31
	s_mov_b32 s18, s23
	s_add_nc_u64 s[16:17], s[16:17], s[28:29]
	s_lshl_b64 s[28:29], s[18:19], 3
	s_add_nc_u64 s[16:17], s[16:17], s[28:29]
	s_delay_alu instid0(SALU_CYCLE_1)
	s_add_nc_u64 s[16:17], s[16:17], -8
	s_load_b64 s[16:17], s[16:17], 0x0
	s_nop 0
	s_load_b64 s[26:27], s[2:3], 0x0
	s_load_b64 s[28:29], s[0:1], 0x28
	s_wait_xcnt 0x0
	s_mul_i32 s2, s30, 10
	s_mov_b32 s30, 0
	s_ashr_i32 s3, s2, 31
	s_delay_alu instid0(SALU_CYCLE_1) | instskip(NEXT) | instid1(SALU_CYCLE_1)
	s_lshl_b64 s[2:3], s[2:3], 3
	s_add_nc_u64 s[6:7], s[6:7], s[2:3]
	s_wait_kmcnt 0x0
	s_add_co_i32 s23, s27, s26
	v_add_f64_e64 v[2:3], s[16:17], s[16:17]
	s_mul_i32 s16, s20, 9
	v_cmp_le_i32_e64 s3, s23, v0
	s_ashr_i32 s17, s16, 31
	v_cmp_gt_i32_e64 s2, s23, v0
	s_lshl_b64 s[16:17], s[16:17], 3
	s_delay_alu instid0(SALU_CYCLE_1)
	s_add_nc_u64 s[16:17], s[6:7], s[16:17]
	s_and_saveexec_b32 s31, s2
	s_cbranch_execz .LBB37_3
; %bb.1:
	s_load_b32 s33, s[0:1], 0x64
	v_mov_b32_e32 v1, v0
	s_wait_kmcnt 0x0
	s_and_b32 s33, s33, 0xffff
.LBB37_2:                               ; =>This Inner Loop Header: Depth=1
	s_delay_alu instid0(VALU_DEP_1) | instid1(SALU_CYCLE_1)
	v_dual_add_nc_u32 v4, s22, v1 :: v_dual_add_nc_u32 v1, s33, v1
	global_store_b64 v4, v[2:3], s[16:17] scale_offset
	v_cmp_le_i32_e32 vcc_lo, s23, v1
	s_or_b32 s30, vcc_lo, s30
	s_wait_xcnt 0x0
	s_and_not1_b32 exec_lo, exec_lo, s30
	s_cbranch_execnz .LBB37_2
.LBB37_3:
	s_or_b32 exec_lo, exec_lo, s31
	s_load_b64 s[30:31], s[0:1], 0x30
	s_mul_u64 s[4:5], s[4:5], s[24:25]
	v_mov_b64_e32 v[4:5], 0
	s_lshl_b64 s[4:5], s[4:5], 3
	s_delay_alu instid0(SALU_CYCLE_1) | instskip(SKIP_3) | instid1(SALU_CYCLE_1)
	s_add_nc_u64 s[4:5], s[28:29], s[4:5]
	s_wait_kmcnt 0x0
	s_ashr_i32 s35, s30, 31
	s_mov_b32 s34, s30
	s_lshl_b64 s[28:29], s[34:35], 3
	s_delay_alu instid0(SALU_CYCLE_1)
	s_add_nc_u64 s[28:29], s[4:5], s[28:29]
	s_mov_b32 s5, exec_lo
	v_cmpx_gt_i32_e64 s26, v0
	s_cbranch_execz .LBB37_7
; %bb.4:
	s_load_b32 s4, s[0:1], 0x64
	v_add_nc_u32_e32 v1, s22, v0
	v_mov_b64_e32 v[4:5], 0
	s_mov_b64 s[34:35], 0x3ff6a09e667f3bcd
	s_mov_b32 s33, 0
	s_delay_alu instid0(VALU_DEP_2) | instskip(SKIP_3) | instid1(SALU_CYCLE_1)
	v_mul_lo_u32 v6, s31, v1
	v_mov_b32_e32 v1, v0
	s_wait_kmcnt 0x0
	s_and_b32 s30, s4, 0xffff
	s_mul_i32 s36, s31, s30
.LBB37_5:                               ; =>This Inner Loop Header: Depth=1
	s_delay_alu instid0(VALU_DEP_2) | instskip(NEXT) | instid1(VALU_DEP_1)
	v_ashrrev_i32_e32 v7, 31, v6
	v_add_nc_u64_e32 v[8:9], s[18:19], v[6:7]
	v_add_nc_u32_e32 v6, s36, v6
	s_delay_alu instid0(VALU_DEP_2) | instskip(SKIP_4) | instid1(VALU_DEP_2)
	v_lshl_add_u64 v[8:9], v[8:9], 3, s[28:29]
	global_load_b64 v[8:9], v[8:9], off offset:-8
	s_wait_loadcnt 0x0
	v_div_scale_f64 v[10:11], null, s[34:35], s[34:35], v[8:9]
	v_div_scale_f64 v[16:17], vcc_lo, v[8:9], s[34:35], v[8:9]
	v_rcp_f64_e32 v[12:13], v[10:11]
	v_nop
	s_delay_alu instid0(TRANS32_DEP_1) | instskip(NEXT) | instid1(VALU_DEP_1)
	v_fma_f64 v[14:15], -v[10:11], v[12:13], 1.0
	v_fmac_f64_e32 v[12:13], v[12:13], v[14:15]
	s_delay_alu instid0(VALU_DEP_1) | instskip(NEXT) | instid1(VALU_DEP_1)
	v_fma_f64 v[14:15], -v[10:11], v[12:13], 1.0
	v_fmac_f64_e32 v[12:13], v[12:13], v[14:15]
	s_delay_alu instid0(VALU_DEP_1) | instskip(NEXT) | instid1(VALU_DEP_1)
	v_mul_f64_e32 v[14:15], v[16:17], v[12:13]
	v_fma_f64 v[10:11], -v[10:11], v[14:15], v[16:17]
	s_delay_alu instid0(VALU_DEP_1) | instskip(SKIP_1) | instid1(VALU_DEP_1)
	v_div_fmas_f64 v[10:11], v[10:11], v[12:13], v[14:15]
	s_wait_xcnt 0x0
	v_div_fixup_f64 v[8:9], v[10:11], s[34:35], v[8:9]
	v_dual_add_nc_u32 v10, s22, v1 :: v_dual_add_nc_u32 v1, s30, v1
	s_delay_alu instid0(VALU_DEP_1)
	v_cmp_le_i32_e64 s4, s26, v1
	s_or_b32 s33, s4, s33
	v_cmp_lt_f64_e64 vcc_lo, v[4:5], |v[8:9]|
	v_and_b32_e32 v7, 0x7fffffff, v9
	global_store_b64 v10, v[8:9], s[6:7] scale_offset
	v_dual_cndmask_b32 v5, v5, v7 :: v_dual_cndmask_b32 v4, v4, v8
	s_wait_xcnt 0x0
	s_and_not1_b32 exec_lo, exec_lo, s33
	s_cbranch_execnz .LBB37_5
; %bb.6:
	s_or_b32 exec_lo, exec_lo, s33
.LBB37_7:
	s_delay_alu instid0(SALU_CYCLE_1) | instskip(SKIP_4) | instid1(SALU_CYCLE_1)
	s_or_b32 exec_lo, exec_lo, s5
	s_add_nc_u64 s[4:5], s[0:1], 0x58
	s_mov_b32 s19, exec_lo
	v_cmpx_le_i32_e64 s27, v0
	s_xor_b32 s19, exec_lo, s19
	s_or_saveexec_b32 s19, s19
	v_mov_b64_e32 v[8:9], s[4:5]
	s_xor_b32 exec_lo, exec_lo, s19
	s_cbranch_execz .LBB37_11
; %bb.8:
	s_load_b32 s0, s[0:1], 0x64
	v_dual_mov_b32 v6, v0 :: v_dual_add_nc_u32 v1, s18, v0
	s_mov_b64 s[34:35], 0x3ff6a09e667f3bcd
	s_mov_b32 s26, 0
	s_delay_alu instid0(VALU_DEP_1) | instskip(SKIP_2) | instid1(SALU_CYCLE_1)
	v_mul_lo_u32 v1, s31, v1
	s_wait_kmcnt 0x0
	s_and_b32 s1, s0, 0xffff
	s_mul_i32 s30, s31, s1
.LBB37_9:                               ; =>This Inner Loop Header: Depth=1
	s_delay_alu instid0(VALU_DEP_1) | instid1(SALU_CYCLE_1)
	v_dual_add_nc_u32 v7, s18, v1 :: v_dual_add_nc_u32 v1, s30, v1
	global_load_b64 v[8:9], v7, s[28:29] scale_offset
	s_wait_loadcnt 0x0
	v_div_scale_f64 v[10:11], null, s[34:35], s[34:35], v[8:9]
	v_div_scale_f64 v[16:17], vcc_lo, v[8:9], s[34:35], v[8:9]
	s_delay_alu instid0(VALU_DEP_2) | instskip(SKIP_1) | instid1(TRANS32_DEP_1)
	v_rcp_f64_e32 v[12:13], v[10:11]
	v_nop
	v_fma_f64 v[14:15], -v[10:11], v[12:13], 1.0
	s_delay_alu instid0(VALU_DEP_1) | instskip(NEXT) | instid1(VALU_DEP_1)
	v_fmac_f64_e32 v[12:13], v[12:13], v[14:15]
	v_fma_f64 v[14:15], -v[10:11], v[12:13], 1.0
	s_delay_alu instid0(VALU_DEP_1) | instskip(NEXT) | instid1(VALU_DEP_1)
	v_fmac_f64_e32 v[12:13], v[12:13], v[14:15]
	v_mul_f64_e32 v[14:15], v[16:17], v[12:13]
	s_delay_alu instid0(VALU_DEP_1) | instskip(NEXT) | instid1(VALU_DEP_1)
	v_fma_f64 v[10:11], -v[10:11], v[14:15], v[16:17]
	v_div_fmas_f64 v[10:11], v[10:11], v[12:13], v[14:15]
	s_delay_alu instid0(VALU_DEP_1) | instskip(SKIP_1) | instid1(VALU_DEP_1)
	v_div_fixup_f64 v[8:9], v[10:11], s[34:35], v[8:9]
	v_dual_add_nc_u32 v10, s18, v6 :: v_dual_add_nc_u32 v6, s1, v6
	v_cmp_le_i32_e64 s0, s27, v6
	s_or_b32 s26, s0, s26
	v_cmp_lt_f64_e64 vcc_lo, v[4:5], |v[8:9]|
	s_wait_xcnt 0x0
	v_and_b32_e32 v7, 0x7fffffff, v9
	global_store_b64 v10, v[8:9], s[6:7] scale_offset
	v_dual_cndmask_b32 v5, v5, v7 :: v_dual_cndmask_b32 v4, v4, v8
	s_wait_xcnt 0x0
	s_and_not1_b32 exec_lo, exec_lo, s26
	s_cbranch_execnz .LBB37_9
; %bb.10:
	s_or_b32 exec_lo, exec_lo, s26
	v_mov_b64_e32 v[8:9], s[4:5]
.LBB37_11:
	s_or_b32 exec_lo, exec_lo, s19
                                        ; implicit-def: $vgpr10
                                        ; implicit-def: $vgpr1
	s_and_saveexec_b32 s0, s3
	s_delay_alu instid0(SALU_CYCLE_1)
	s_xor_b32 s0, exec_lo, s0
	s_cbranch_execz .LBB37_13
; %bb.12:
	global_load_u16 v10, v[8:9], off offset:12
                                        ; implicit-def: $vgpr8_vgpr9
	s_wait_loadcnt 0x0
	v_and_b32_e32 v1, 0xffff, v10
	s_wait_xcnt 0x0
	s_or_saveexec_b32 s1, s0
	v_mov_b64_e32 v[6:7], 0
	s_xor_b32 exec_lo, exec_lo, s1
	s_cbranch_execz .LBB37_17
	s_branch .LBB37_14
.LBB37_13:
	s_or_saveexec_b32 s1, s0
	v_mov_b64_e32 v[6:7], 0
	s_xor_b32 exec_lo, exec_lo, s1
	s_cbranch_execz .LBB37_17
.LBB37_14:
	global_load_u16 v10, v[8:9], off offset:12
	v_mov_b64_e32 v[6:7], 0
	s_mul_u64 s[4:5], s[14:15], s[24:25]
	s_wait_xcnt 0x0
	v_mov_b32_e32 v8, v0
	s_lshl_b64 s[4:5], s[4:5], 3
	s_mov_b32 s3, 0
	s_add_nc_u64 s[4:5], s[12:13], s[4:5]
	s_wait_loadcnt 0x0
	v_and_b32_e32 v1, 0xffff, v10
.LBB37_15:                              ; =>This Inner Loop Header: Depth=1
	s_delay_alu instid0(VALU_DEP_1)
	v_dual_add_nc_u32 v9, s22, v8 :: v_dual_add_nc_u32 v8, v8, v1
	global_load_b64 v[12:13], v9, s[4:5] scale_offset
	v_cmp_le_i32_e64 s0, s23, v8
	s_or_b32 s3, s0, s3
	s_wait_loadcnt 0x0
	v_cmp_lt_f64_e64 vcc_lo, v[6:7], |v[12:13]|
	s_wait_xcnt 0x0
	v_and_b32_e32 v9, 0x7fffffff, v13
	s_delay_alu instid0(VALU_DEP_1)
	v_dual_cndmask_b32 v7, v7, v9 :: v_dual_cndmask_b32 v6, v6, v12
	s_and_not1_b32 exec_lo, exec_lo, s3
	s_cbranch_execnz .LBB37_15
; %bb.16:
	s_or_b32 exec_lo, exec_lo, s3
.LBB37_17:
	s_delay_alu instid0(SALU_CYCLE_1)
	s_or_b32 exec_lo, exec_lo, s1
	v_lshlrev_b32_e32 v8, 3, v0
	s_mov_b32 s1, exec_lo
	ds_store_2addr_stride64_b64 v8, v[6:7], v[4:5] offset1:8
	s_wait_storecnt_dscnt 0x0
	s_barrier_signal -1
	s_barrier_wait -1
	v_cmpx_lt_u16_e32 1, v10
	s_cbranch_execz .LBB37_22
; %bb.18:
	v_or_b32_e32 v9, 0x1000, v8
	v_mov_b32_e32 v10, v1
	s_mov_b32 s3, 0
	s_branch .LBB37_20
.LBB37_19:                              ;   in Loop: Header=BB37_20 Depth=1
	s_or_b32 exec_lo, exec_lo, s4
	v_cmp_gt_u32_e32 vcc_lo, 4, v10
	v_mov_b32_e32 v10, v11
	s_wait_dscnt 0x0
	s_barrier_signal -1
	s_barrier_wait -1
	s_or_b32 s3, vcc_lo, s3
	s_delay_alu instid0(SALU_CYCLE_1)
	s_and_not1_b32 exec_lo, exec_lo, s3
	s_cbranch_execz .LBB37_22
.LBB37_20:                              ; =>This Inner Loop Header: Depth=1
	s_delay_alu instid0(VALU_DEP_1) | instskip(SKIP_1) | instid1(VALU_DEP_1)
	v_lshrrev_b32_e32 v11, 1, v10
	s_mov_b32 s4, exec_lo
	v_cmpx_lt_u32_e64 v0, v11
	s_cbranch_execz .LBB37_19
; %bb.21:                               ;   in Loop: Header=BB37_20 Depth=1
	v_lshlrev_b32_e32 v12, 3, v11
	s_delay_alu instid0(VALU_DEP_1)
	v_dual_add_nc_u32 v13, v8, v12 :: v_dual_add_nc_u32 v14, v9, v12
	ds_load_b64 v[12:13], v13
	ds_load_b64 v[14:15], v14
	s_wait_dscnt 0x1
	v_cmp_lt_f64_e32 vcc_lo, v[6:7], v[12:13]
	s_wait_dscnt 0x0
	v_cmp_lt_f64_e64 s0, v[4:5], v[14:15]
	s_delay_alu instid0(VALU_DEP_1)
	v_dual_cndmask_b32 v7, v7, v13, vcc_lo :: v_dual_cndmask_b32 v5, v5, v15, s0
	v_dual_cndmask_b32 v6, v6, v12, vcc_lo :: v_dual_cndmask_b32 v4, v4, v14, s0
	ds_store_b64 v8, v[6:7]
	ds_store_b64 v9, v[4:5]
	s_branch .LBB37_19
.LBB37_22:
	s_or_b32 exec_lo, exec_lo, s1
	s_and_saveexec_b32 s0, s2
	s_cbranch_execz .LBB37_27
; %bb.23:
	v_mov_b32_e32 v4, 0
	v_ldexp_f64 v[8:9], s[10:11], 3
	s_mov_b64 s[0:1], 0xffffffffffffffd8
	s_lshl_b64 s[2:3], s[20:21], 3
	s_mul_u64 s[0:1], s[20:21], s[0:1]
	ds_load_2addr_stride64_b64 v[4:7], v4 offset1:8
	s_add_nc_u64 s[0:1], s[16:17], s[0:1]
	s_mov_b32 s4, 0
	s_add_nc_u64 s[2:3], s[0:1], s[2:3]
	s_wait_dscnt 0x0
	v_cmp_lt_f64_e32 vcc_lo, v[4:5], v[6:7]
	v_dual_cndmask_b32 v5, v5, v7 :: v_dual_cndmask_b32 v4, v4, v6
	v_mov_b32_e32 v6, v0
	s_delay_alu instid0(VALU_DEP_2)
	v_mul_f64_e32 v[4:5], v[8:9], v[4:5]
.LBB37_24:                              ; =>This Inner Loop Header: Depth=1
	s_delay_alu instid0(VALU_DEP_2)
	v_dual_add_nc_u32 v7, s22, v6 :: v_dual_add_nc_u32 v6, v6, v1
	s_clause 0x1
	global_store_b64 v7, v[4:5], s[0:1] scale_offset
	global_store_b64 v7, v[4:5], s[2:3] scale_offset
	v_cmp_le_i32_e32 vcc_lo, s23, v6
	s_or_b32 s4, vcc_lo, s4
	s_wait_xcnt 0x0
	s_and_not1_b32 exec_lo, exec_lo, s4
	s_cbranch_execnz .LBB37_24
; %bb.25:
	s_or_b32 exec_lo, exec_lo, s4
	s_mov_b32 s0, 0
.LBB37_26:                              ; =>This Inner Loop Header: Depth=1
	v_dual_add_nc_u32 v8, s22, v0 :: v_dual_add_nc_u32 v0, v0, v1
	global_load_b64 v[6:7], v8, s[6:7] scale_offset
	v_cmp_le_i32_e32 vcc_lo, s23, v0
	s_or_b32 s0, vcc_lo, s0
	s_wait_loadcnt 0x0
	v_mul_f64_e32 v[6:7], v[2:3], v[6:7]
	s_delay_alu instid0(VALU_DEP_1) | instskip(NEXT) | instid1(VALU_DEP_1)
	v_cmp_nle_f64_e64 s1, |v[6:7]|, v[4:5]
	v_cndmask_b32_e64 v6, 0, 1, s1
	global_store_b32 v8, v6, s[8:9] scale_offset
	s_wait_xcnt 0x0
	s_and_not1_b32 exec_lo, exec_lo, s0
	s_cbranch_execnz .LBB37_26
.LBB37_27:
	s_endpgm
	.section	.rodata,"a",@progbits
	.p2align	6, 0x0
	.amdhsa_kernel _ZN9rocsolver6v33100L37stedc_mergePrepare_DeflateZero_kernelIdEEviiPT_lS3_lS3_iilS3_PiS2_
		.amdhsa_group_segment_fixed_size 8192
		.amdhsa_private_segment_fixed_size 0
		.amdhsa_kernarg_size 344
		.amdhsa_user_sgpr_count 2
		.amdhsa_user_sgpr_dispatch_ptr 0
		.amdhsa_user_sgpr_queue_ptr 0
		.amdhsa_user_sgpr_kernarg_segment_ptr 1
		.amdhsa_user_sgpr_dispatch_id 0
		.amdhsa_user_sgpr_kernarg_preload_length 0
		.amdhsa_user_sgpr_kernarg_preload_offset 0
		.amdhsa_user_sgpr_private_segment_size 0
		.amdhsa_wavefront_size32 1
		.amdhsa_uses_dynamic_stack 0
		.amdhsa_enable_private_segment 0
		.amdhsa_system_sgpr_workgroup_id_x 1
		.amdhsa_system_sgpr_workgroup_id_y 1
		.amdhsa_system_sgpr_workgroup_id_z 0
		.amdhsa_system_sgpr_workgroup_info 0
		.amdhsa_system_vgpr_workitem_id 0
		.amdhsa_next_free_vgpr 18
		.amdhsa_next_free_sgpr 37
		.amdhsa_named_barrier_count 0
		.amdhsa_reserve_vcc 1
		.amdhsa_float_round_mode_32 0
		.amdhsa_float_round_mode_16_64 0
		.amdhsa_float_denorm_mode_32 3
		.amdhsa_float_denorm_mode_16_64 3
		.amdhsa_fp16_overflow 0
		.amdhsa_memory_ordered 1
		.amdhsa_forward_progress 1
		.amdhsa_inst_pref_size 15
		.amdhsa_round_robin_scheduling 0
		.amdhsa_exception_fp_ieee_invalid_op 0
		.amdhsa_exception_fp_denorm_src 0
		.amdhsa_exception_fp_ieee_div_zero 0
		.amdhsa_exception_fp_ieee_overflow 0
		.amdhsa_exception_fp_ieee_underflow 0
		.amdhsa_exception_fp_ieee_inexact 0
		.amdhsa_exception_int_div_zero 0
	.end_amdhsa_kernel
	.section	.text._ZN9rocsolver6v33100L37stedc_mergePrepare_DeflateZero_kernelIdEEviiPT_lS3_lS3_iilS3_PiS2_,"axG",@progbits,_ZN9rocsolver6v33100L37stedc_mergePrepare_DeflateZero_kernelIdEEviiPT_lS3_lS3_iilS3_PiS2_,comdat
.Lfunc_end37:
	.size	_ZN9rocsolver6v33100L37stedc_mergePrepare_DeflateZero_kernelIdEEviiPT_lS3_lS3_iilS3_PiS2_, .Lfunc_end37-_ZN9rocsolver6v33100L37stedc_mergePrepare_DeflateZero_kernelIdEEviiPT_lS3_lS3_iilS3_PiS2_
                                        ; -- End function
	.set _ZN9rocsolver6v33100L37stedc_mergePrepare_DeflateZero_kernelIdEEviiPT_lS3_lS3_iilS3_PiS2_.num_vgpr, 18
	.set _ZN9rocsolver6v33100L37stedc_mergePrepare_DeflateZero_kernelIdEEviiPT_lS3_lS3_iilS3_PiS2_.num_agpr, 0
	.set _ZN9rocsolver6v33100L37stedc_mergePrepare_DeflateZero_kernelIdEEviiPT_lS3_lS3_iilS3_PiS2_.numbered_sgpr, 37
	.set _ZN9rocsolver6v33100L37stedc_mergePrepare_DeflateZero_kernelIdEEviiPT_lS3_lS3_iilS3_PiS2_.num_named_barrier, 0
	.set _ZN9rocsolver6v33100L37stedc_mergePrepare_DeflateZero_kernelIdEEviiPT_lS3_lS3_iilS3_PiS2_.private_seg_size, 0
	.set _ZN9rocsolver6v33100L37stedc_mergePrepare_DeflateZero_kernelIdEEviiPT_lS3_lS3_iilS3_PiS2_.uses_vcc, 1
	.set _ZN9rocsolver6v33100L37stedc_mergePrepare_DeflateZero_kernelIdEEviiPT_lS3_lS3_iilS3_PiS2_.uses_flat_scratch, 0
	.set _ZN9rocsolver6v33100L37stedc_mergePrepare_DeflateZero_kernelIdEEviiPT_lS3_lS3_iilS3_PiS2_.has_dyn_sized_stack, 0
	.set _ZN9rocsolver6v33100L37stedc_mergePrepare_DeflateZero_kernelIdEEviiPT_lS3_lS3_iilS3_PiS2_.has_recursion, 0
	.set _ZN9rocsolver6v33100L37stedc_mergePrepare_DeflateZero_kernelIdEEviiPT_lS3_lS3_iilS3_PiS2_.has_indirect_call, 0
	.section	.AMDGPU.csdata,"",@progbits
; Kernel info:
; codeLenInByte = 1808
; TotalNumSgprs: 39
; NumVgprs: 18
; ScratchSize: 0
; MemoryBound: 0
; FloatMode: 240
; IeeeMode: 1
; LDSByteSize: 8192 bytes/workgroup (compile time only)
; SGPRBlocks: 0
; VGPRBlocks: 1
; NumSGPRsForWavesPerEU: 39
; NumVGPRsForWavesPerEU: 18
; NamedBarCnt: 0
; Occupancy: 16
; WaveLimiterHint : 1
; COMPUTE_PGM_RSRC2:SCRATCH_EN: 0
; COMPUTE_PGM_RSRC2:USER_SGPR: 2
; COMPUTE_PGM_RSRC2:TRAP_HANDLER: 0
; COMPUTE_PGM_RSRC2:TGID_X_EN: 1
; COMPUTE_PGM_RSRC2:TGID_Y_EN: 1
; COMPUTE_PGM_RSRC2:TGID_Z_EN: 0
; COMPUTE_PGM_RSRC2:TIDIG_COMP_CNT: 0
	.section	.text._ZN9rocsolver6v33100L31stedc_mergePrepare_SortD_kernelIdEEviiPT_lS3_Pi,"axG",@progbits,_ZN9rocsolver6v33100L31stedc_mergePrepare_SortD_kernelIdEEviiPT_lS3_Pi,comdat
	.globl	_ZN9rocsolver6v33100L31stedc_mergePrepare_SortD_kernelIdEEviiPT_lS3_Pi ; -- Begin function _ZN9rocsolver6v33100L31stedc_mergePrepare_SortD_kernelIdEEviiPT_lS3_Pi
	.p2align	8
	.type	_ZN9rocsolver6v33100L31stedc_mergePrepare_SortD_kernelIdEEviiPT_lS3_Pi,@function
_ZN9rocsolver6v33100L31stedc_mergePrepare_SortD_kernelIdEEviiPT_lS3_Pi: ; @_ZN9rocsolver6v33100L31stedc_mergePrepare_SortD_kernelIdEEviiPT_lS3_Pi
; %bb.0:
	s_clause 0x1
	s_load_b32 s16, s[0:1], 0x4
	s_load_b256 s[8:15], s[0:1], 0x8
	s_bfe_u32 s5, ttmp6, 0x4000c
	s_bfe_u32 s6, ttmp6, 0x40010
	s_load_b32 s19, s[0:1], 0x34
	s_add_co_i32 s5, s5, 1
	s_add_co_i32 s6, s6, 1
	s_and_b32 s4, ttmp6, 15
	s_bfe_u32 s7, ttmp6, 0x40004
	s_wait_xcnt 0x0
	s_mul_i32 s0, ttmp9, s5
	s_mul_i32 s1, ttmp7, s6
	s_getreg_b32 s18, hwreg(HW_REG_IB_STS2, 6, 4)
	s_add_co_i32 s5, s4, s0
	s_add_co_i32 s7, s7, s1
	s_mov_b64 s[2:3], 0xffffffffffffffec
	v_mov_b32_e32 v2, 0
	s_wait_kmcnt 0x0
	s_ashr_i32 s17, s16, 31
	s_cmp_eq_u32 s18, 0
	s_mul_u64 s[0:1], s[16:17], 12
	s_cselect_b32 s4, ttmp7, s7
	s_mul_u64 s[2:3], s[16:17], s[2:3]
	s_cselect_b32 s18, ttmp9, s5
	s_lshl_b64 s[24:25], s[16:17], 2
	s_mul_i32 s17, s4, s16
	s_lshl_b32 s6, s16, 3
	s_mul_i32 s20, s17, 13
	s_ashr_i32 s7, s6, 31
	s_ashr_i32 s21, s20, 31
	s_lshl_b64 s[6:7], s[6:7], 2
	s_lshl_b64 s[20:21], s[20:21], 2
	s_and_b32 s30, s19, 0xffff
	s_add_nc_u64 s[14:15], s[14:15], s[20:21]
	s_sub_nc_u64 s[22:23], 0, s[24:25]
	s_add_nc_u64 s[26:27], s[14:15], s[6:7]
	s_lshl_b32 s31, s30, 3
	s_add_nc_u64 s[20:21], s[26:27], s[22:23]
	s_ashr_i32 s19, s18, 31
	s_cvt_f32_u32 s5, s31
	s_add_nc_u64 s[22:23], s[20:21], s[0:1]
	s_lshl_b64 s[0:1], s[18:19], 2
	s_add_nc_u64 s[2:3], s[22:23], s[2:3]
	v_rcp_iflag_f32_e32 v1, s5
	s_add_nc_u64 s[6:7], s[2:3], s[0:1]
	s_add_nc_u64 s[2:3], s[2:3], s[24:25]
	s_load_b32 s33, s[6:7], 0x0
	s_ashr_i32 s5, s4, 31
	s_add_nc_u64 s[2:3], s[2:3], s[0:1]
	s_mul_u64 s[4:5], s[10:11], s[4:5]
	s_load_b32 s11, s[2:3], 0x0
	s_wait_xcnt 0x0
	v_nop
	v_readfirstlane_b32 s6, v1
	s_sub_co_i32 s7, 0, s31
	s_lshl_b64 s[4:5], s[4:5], 3
	s_lshl_b64 s[14:15], s[18:19], 3
	s_add_nc_u64 s[28:29], s[8:9], s[4:5]
	s_mul_f32 s6, s6, 0x4f7ffffe
	v_mov_b32_e32 v1, 0
	s_delay_alu instid0(SALU_CYCLE_2) | instskip(NEXT) | instid1(SALU_CYCLE_3)
	s_cvt_u32_f32 s6, s6
	s_mul_i32 s7, s7, s6
	s_delay_alu instid0(SALU_CYCLE_1)
	s_mul_hi_u32 s2, s6, s7
	s_wait_kmcnt 0x0
	s_add_co_i32 s4, s33, -1
	s_add_co_i32 s6, s6, s2
	s_abs_i32 s5, s4
	s_add_nc_u64 s[2:3], s[28:29], s[14:15]
	s_mul_hi_u32 s6, s5, s6
	s_load_b64 s[24:25], s[2:3], 0x0
	s_wait_xcnt 0x0
	s_mul_i32 s2, s6, s31
	s_ashr_i32 s3, s4, 31
	s_sub_co_i32 s2, s5, s2
	s_add_co_i32 s4, s6, 1
	s_sub_co_i32 s5, s2, s31
	s_cmp_ge_u32 s2, s31
	s_cselect_b32 s4, s4, s6
	s_cselect_b32 s2, s5, s2
	s_add_co_i32 s5, s4, 1
	s_cmp_ge_u32 s2, s31
	s_cselect_b32 s2, s5, s4
	s_delay_alu instid0(SALU_CYCLE_1) | instskip(NEXT) | instid1(SALU_CYCLE_1)
	s_xor_b32 s2, s2, s3
	s_sub_co_i32 s3, s2, s3
	s_mov_b32 s2, -1
	s_cmp_lt_i32 s3, 0
	s_cbranch_scc1 .LBB38_36
; %bb.1:
	s_add_nc_u64 s[0:1], s[26:27], s[0:1]
	v_dual_mov_b32 v2, 0 :: v_dual_mov_b32 v1, v0
	s_load_b32 s34, s[0:1], 0x0
	s_wait_xcnt 0x0
	s_lshl_b32 s0, s30, 1
	s_mul_i32 s1, s30, 3
	v_dual_mov_b32 v7, v2 :: v_dual_mov_b32 v8, v2
	v_dual_mov_b32 v9, v2 :: v_dual_mov_b32 v12, v2
	;; [unrolled: 1-line block ×4, first 2 shown]
	s_delay_alu instid0(VALU_DEP_3) | instskip(NEXT) | instid1(VALU_DEP_2)
	v_mov_b64_e32 v[10:11], v[8:9]
	v_mov_b64_e32 v[8:9], v[6:7]
	s_delay_alu instid0(VALU_DEP_3)
	v_mov_b64_e32 v[6:7], v[4:5]
	v_mov_b64_e32 v[4:5], v[2:3]
	s_add_co_i32 s35, s11, s0
	s_add_co_i32 s36, s11, s1
	s_lshl_b32 s0, s30, 2
	s_mul_i32 s1, s30, 5
	v_dual_mov_b32 v13, v2 :: v_dual_mov_b32 v14, v2
	v_dual_mov_b32 v15, v2 :: v_dual_mov_b32 v16, v2
	v_dual_mov_b32 v17, v2 :: v_dual_mov_b32 v18, v2
	v_dual_mov_b32 v19, v2 :: v_dual_mov_b32 v20, v2
	v_dual_mov_b32 v21, v2 :: v_dual_mov_b32 v22, v2
	v_dual_mov_b32 v23, v2 :: v_dual_mov_b32 v24, v2
	v_dual_mov_b32 v25, v2 :: v_dual_mov_b32 v26, v2
	v_dual_mov_b32 v27, v2 :: v_dual_mov_b32 v28, v2
	v_dual_mov_b32 v29, v2 :: v_dual_mov_b32 v30, v2
	s_add_co_i32 s37, s11, s0
	s_add_co_i32 s38, s11, s1
	s_mul_i32 s0, s30, 6
	s_mul_i32 s1, s30, 7
	s_add_co_i32 s19, s3, 1
	s_add_co_i32 s39, s11, s0
	;; [unrolled: 1-line block ×4, first 2 shown]
	s_branch .LBB38_3
.LBB38_2:                               ;   in Loop: Header=BB38_3 Depth=1
	s_or_b32 exec_lo, exec_lo, s4
	v_add_nc_u32_e32 v1, s31, v1
	s_add_co_i32 s19, s19, -1
	s_delay_alu instid0(SALU_CYCLE_1)
	s_cmp_eq_u32 s19, 0
	s_cbranch_scc1 .LBB38_35
.LBB38_3:                               ; =>This Inner Loop Header: Depth=1
	s_delay_alu instid0(VALU_DEP_1)
	v_cmp_gt_i32_e64 s6, s33, v1
	v_add_nc_u32_e32 v37, s11, v1
	s_and_saveexec_b32 s0, s6
	s_cbranch_execz .LBB38_5
; %bb.4:                                ;   in Loop: Header=BB38_3 Depth=1
	s_wait_loadcnt 0x1
	global_load_b64 v[12:13], v37, s[28:29] scale_offset
	s_wait_loadcnt 0x1
	global_load_b32 v4, v37, s[26:27] scale_offset
.LBB38_5:                               ;   in Loop: Header=BB38_3 Depth=1
	s_wait_xcnt 0x0
	s_or_b32 exec_lo, exec_lo, s0
	v_dual_add_nc_u32 v3, s30, v1 :: v_dual_add_nc_u32 v36, s41, v1
	s_delay_alu instid0(VALU_DEP_1)
	v_cmp_gt_i32_e64 s5, s33, v3
	s_and_saveexec_b32 s0, s5
	s_cbranch_execz .LBB38_7
; %bb.6:                                ;   in Loop: Header=BB38_3 Depth=1
	s_wait_loadcnt 0x1
	global_load_b64 v[14:15], v36, s[28:29] scale_offset
	s_wait_loadcnt 0x1
	global_load_b32 v5, v36, s[26:27] scale_offset
.LBB38_7:                               ;   in Loop: Header=BB38_3 Depth=1
	s_wait_xcnt 0x0
	s_or_b32 exec_lo, exec_lo, s0
	v_dual_add_nc_u32 v3, s30, v3 :: v_dual_add_nc_u32 v35, s35, v1
	s_delay_alu instid0(VALU_DEP_1)
	v_cmp_gt_i32_e64 s4, s33, v3
	;; [unrolled: 13-line block ×3, first 2 shown]
	s_and_saveexec_b32 s0, s3
	s_cbranch_execz .LBB38_11
; %bb.10:                               ;   in Loop: Header=BB38_3 Depth=1
	s_wait_loadcnt 0x1
	global_load_b64 v[18:19], v34, s[28:29] scale_offset
	s_wait_loadcnt 0x1
	global_load_b32 v7, v34, s[26:27] scale_offset
.LBB38_11:                              ;   in Loop: Header=BB38_3 Depth=1
	s_wait_xcnt 0x0
	s_or_b32 exec_lo, exec_lo, s0
	v_dual_add_nc_u32 v3, s30, v3 :: v_dual_add_nc_u32 v33, s37, v1
	s_delay_alu instid0(VALU_DEP_1)
	v_cmp_gt_i32_e64 s2, s33, v3
	s_and_saveexec_b32 s0, s2
	s_cbranch_execz .LBB38_13
; %bb.12:                               ;   in Loop: Header=BB38_3 Depth=1
	s_wait_loadcnt 0x1
	global_load_b64 v[20:21], v33, s[28:29] scale_offset
	s_wait_loadcnt 0x1
	global_load_b32 v8, v33, s[26:27] scale_offset
.LBB38_13:                              ;   in Loop: Header=BB38_3 Depth=1
	s_wait_xcnt 0x0
	s_or_b32 exec_lo, exec_lo, s0
	v_dual_add_nc_u32 v3, s30, v3 :: v_dual_add_nc_u32 v32, s38, v1
	s_delay_alu instid0(VALU_DEP_1)
	v_cmp_gt_i32_e64 s1, s33, v3
	;; [unrolled: 13-line block ×3, first 2 shown]
	s_and_saveexec_b32 s7, s0
	s_cbranch_execz .LBB38_17
; %bb.16:                               ;   in Loop: Header=BB38_3 Depth=1
	s_wait_loadcnt 0x1
	global_load_b64 v[24:25], v31, s[28:29] scale_offset
	s_wait_loadcnt 0x1
	global_load_b32 v10, v31, s[26:27] scale_offset
.LBB38_17:                              ;   in Loop: Header=BB38_3 Depth=1
	s_wait_xcnt 0x0
	s_or_b32 exec_lo, exec_lo, s7
	v_add_nc_u32_e32 v3, s30, v3
	s_delay_alu instid0(VALU_DEP_1)
	v_cmp_gt_i32_e32 vcc_lo, s33, v3
	v_add_nc_u32_e32 v3, s40, v1
	s_and_saveexec_b32 s7, vcc_lo
	s_cbranch_execnz .LBB38_26
; %bb.18:                               ;   in Loop: Header=BB38_3 Depth=1
	s_or_b32 exec_lo, exec_lo, s7
	s_and_saveexec_b32 s42, s6
	s_cbranch_execnz .LBB38_27
.LBB38_19:                              ;   in Loop: Header=BB38_3 Depth=1
	s_or_b32 exec_lo, exec_lo, s42
	s_and_saveexec_b32 s10, s5
	s_cbranch_execnz .LBB38_28
.LBB38_20:                              ;   in Loop: Header=BB38_3 Depth=1
	s_or_b32 exec_lo, exec_lo, s10
	s_and_saveexec_b32 s9, s4
	s_cbranch_execnz .LBB38_29
.LBB38_21:                              ;   in Loop: Header=BB38_3 Depth=1
	s_or_b32 exec_lo, exec_lo, s9
	s_and_saveexec_b32 s8, s3
	s_cbranch_execnz .LBB38_30
.LBB38_22:                              ;   in Loop: Header=BB38_3 Depth=1
	s_or_b32 exec_lo, exec_lo, s8
	s_and_saveexec_b32 s7, s2
	s_cbranch_execnz .LBB38_31
.LBB38_23:                              ;   in Loop: Header=BB38_3 Depth=1
	s_or_b32 exec_lo, exec_lo, s7
	s_and_saveexec_b32 s6, s1
	s_cbranch_execnz .LBB38_32
.LBB38_24:                              ;   in Loop: Header=BB38_3 Depth=1
	s_or_b32 exec_lo, exec_lo, s6
	s_and_saveexec_b32 s5, s0
	s_cbranch_execnz .LBB38_33
.LBB38_25:                              ;   in Loop: Header=BB38_3 Depth=1
	s_or_b32 exec_lo, exec_lo, s5
	s_and_saveexec_b32 s4, vcc_lo
	s_cbranch_execz .LBB38_2
	s_branch .LBB38_34
.LBB38_26:                              ;   in Loop: Header=BB38_3 Depth=1
	s_wait_loadcnt 0x1
	global_load_b64 v[26:27], v3, s[28:29] scale_offset
	s_wait_loadcnt 0x1
	global_load_b32 v11, v3, s[26:27] scale_offset
	s_wait_xcnt 0x0
	s_or_b32 exec_lo, exec_lo, s7
	s_and_saveexec_b32 s42, s6
	s_cbranch_execz .LBB38_19
.LBB38_27:                              ;   in Loop: Header=BB38_3 Depth=1
	s_wait_loadcnt 0x1
	v_cmp_u_f64_e64 s8, v[12:13], v[12:13]
	s_wait_kmcnt 0x0
	v_cmp_gt_f64_e64 s6, s[24:25], v[12:13]
	v_cmp_eq_f64_e64 s7, s[24:25], v[12:13]
	s_wait_loadcnt 0x0
	v_cmp_lt_i32_e64 s10, 0, v4
	v_cmp_eq_u32_e64 s9, s34, v4
	s_delay_alu instid0(VALU_DEP_2)
	v_add_co_ci_u32_e64 v2, null, 0, v2, s10
	v_cmp_gt_i32_e64 s10, s18, v37
	v_add_co_ci_u32_e64 v28, null, 0, v28, s8
	v_cmp_lt_i32_e64 s8, s34, v4
	s_and_b32 s6, s9, s6
	s_and_b32 s7, s9, s7
	s_or_b32 s6, s8, s6
	s_delay_alu instid0(SALU_CYCLE_1) | instskip(SKIP_1) | instid1(SALU_CYCLE_1)
	v_add_co_ci_u32_e64 v30, null, 0, v30, s6
	s_and_b32 s6, s7, s10
	v_add_co_ci_u32_e64 v29, null, 0, v29, s6
	s_or_b32 exec_lo, exec_lo, s42
	s_and_saveexec_b32 s10, s5
	s_cbranch_execz .LBB38_20
.LBB38_28:                              ;   in Loop: Header=BB38_3 Depth=1
	s_wait_loadcnt 0x1
	v_cmp_u_f64_e64 s7, v[14:15], v[14:15]
	s_wait_kmcnt 0x0
	v_cmp_gt_f64_e64 s5, s[24:25], v[14:15]
	v_cmp_eq_f64_e64 s6, s[24:25], v[14:15]
	s_wait_loadcnt 0x0
	v_cmp_lt_i32_e64 s9, 0, v5
	v_cmp_eq_u32_e64 s8, s34, v5
	s_delay_alu instid0(VALU_DEP_2)
	v_add_co_ci_u32_e64 v2, null, 0, v2, s9
	v_cmp_gt_i32_e64 s9, s18, v36
	v_add_co_ci_u32_e64 v28, null, 0, v28, s7
	v_cmp_lt_i32_e64 s7, s34, v5
	s_and_b32 s5, s8, s5
	s_and_b32 s6, s8, s6
	s_or_b32 s5, s7, s5
	s_delay_alu instid0(SALU_CYCLE_1) | instskip(SKIP_1) | instid1(SALU_CYCLE_1)
	v_add_co_ci_u32_e64 v30, null, 0, v30, s5
	s_and_b32 s5, s6, s9
	v_add_co_ci_u32_e64 v29, null, 0, v29, s5
	s_or_b32 exec_lo, exec_lo, s10
	s_and_saveexec_b32 s9, s4
	s_cbranch_execz .LBB38_21
.LBB38_29:                              ;   in Loop: Header=BB38_3 Depth=1
	s_wait_loadcnt 0x1
	v_cmp_u_f64_e64 s6, v[16:17], v[16:17]
	s_wait_kmcnt 0x0
	v_cmp_gt_f64_e64 s4, s[24:25], v[16:17]
	v_cmp_eq_f64_e64 s5, s[24:25], v[16:17]
	s_wait_loadcnt 0x0
	v_cmp_lt_i32_e64 s8, 0, v6
	v_cmp_eq_u32_e64 s7, s34, v6
	s_delay_alu instid0(VALU_DEP_2)
	v_add_co_ci_u32_e64 v2, null, 0, v2, s8
	v_cmp_gt_i32_e64 s8, s18, v35
	v_add_co_ci_u32_e64 v28, null, 0, v28, s6
	v_cmp_lt_i32_e64 s6, s34, v6
	s_and_b32 s4, s7, s4
	s_and_b32 s5, s7, s5
	s_or_b32 s4, s6, s4
	s_delay_alu instid0(SALU_CYCLE_1) | instskip(SKIP_1) | instid1(SALU_CYCLE_1)
	v_add_co_ci_u32_e64 v30, null, 0, v30, s4
	s_and_b32 s4, s5, s8
	v_add_co_ci_u32_e64 v29, null, 0, v29, s4
	s_or_b32 exec_lo, exec_lo, s9
	s_and_saveexec_b32 s8, s3
	s_cbranch_execz .LBB38_22
.LBB38_30:                              ;   in Loop: Header=BB38_3 Depth=1
	s_wait_loadcnt 0x1
	v_cmp_u_f64_e64 s5, v[18:19], v[18:19]
	s_wait_kmcnt 0x0
	v_cmp_gt_f64_e64 s3, s[24:25], v[18:19]
	v_cmp_eq_f64_e64 s4, s[24:25], v[18:19]
	s_wait_loadcnt 0x0
	v_cmp_lt_i32_e64 s7, 0, v7
	v_cmp_eq_u32_e64 s6, s34, v7
	s_delay_alu instid0(VALU_DEP_2)
	v_add_co_ci_u32_e64 v2, null, 0, v2, s7
	v_cmp_gt_i32_e64 s7, s18, v34
	v_add_co_ci_u32_e64 v28, null, 0, v28, s5
	v_cmp_lt_i32_e64 s5, s34, v7
	s_and_b32 s3, s6, s3
	s_and_b32 s4, s6, s4
	s_or_b32 s3, s5, s3
	s_delay_alu instid0(SALU_CYCLE_1) | instskip(SKIP_1) | instid1(SALU_CYCLE_1)
	v_add_co_ci_u32_e64 v30, null, 0, v30, s3
	s_and_b32 s3, s4, s7
	v_add_co_ci_u32_e64 v29, null, 0, v29, s3
	s_or_b32 exec_lo, exec_lo, s8
	s_and_saveexec_b32 s7, s2
	s_cbranch_execz .LBB38_23
.LBB38_31:                              ;   in Loop: Header=BB38_3 Depth=1
	s_wait_loadcnt 0x1
	v_cmp_u_f64_e64 s4, v[20:21], v[20:21]
	s_wait_kmcnt 0x0
	v_cmp_gt_f64_e64 s2, s[24:25], v[20:21]
	v_cmp_eq_f64_e64 s3, s[24:25], v[20:21]
	s_wait_loadcnt 0x0
	v_cmp_lt_i32_e64 s6, 0, v8
	v_cmp_eq_u32_e64 s5, s34, v8
	s_delay_alu instid0(VALU_DEP_2)
	v_add_co_ci_u32_e64 v2, null, 0, v2, s6
	v_cmp_gt_i32_e64 s6, s18, v33
	v_add_co_ci_u32_e64 v28, null, 0, v28, s4
	v_cmp_lt_i32_e64 s4, s34, v8
	s_and_b32 s2, s5, s2
	s_and_b32 s3, s5, s3
	s_or_b32 s2, s4, s2
	s_delay_alu instid0(SALU_CYCLE_1) | instskip(SKIP_1) | instid1(SALU_CYCLE_1)
	v_add_co_ci_u32_e64 v30, null, 0, v30, s2
	s_and_b32 s2, s3, s6
	v_add_co_ci_u32_e64 v29, null, 0, v29, s2
	s_or_b32 exec_lo, exec_lo, s7
	s_and_saveexec_b32 s6, s1
	s_cbranch_execz .LBB38_24
.LBB38_32:                              ;   in Loop: Header=BB38_3 Depth=1
	s_wait_loadcnt 0x1
	v_cmp_u_f64_e64 s3, v[22:23], v[22:23]
	s_wait_kmcnt 0x0
	v_cmp_gt_f64_e64 s1, s[24:25], v[22:23]
	v_cmp_eq_f64_e64 s2, s[24:25], v[22:23]
	s_wait_loadcnt 0x0
	v_cmp_lt_i32_e64 s5, 0, v9
	v_cmp_eq_u32_e64 s4, s34, v9
	s_delay_alu instid0(VALU_DEP_2)
	v_add_co_ci_u32_e64 v2, null, 0, v2, s5
	v_cmp_gt_i32_e64 s5, s18, v32
	v_add_co_ci_u32_e64 v28, null, 0, v28, s3
	v_cmp_lt_i32_e64 s3, s34, v9
	s_and_b32 s1, s4, s1
	s_and_b32 s2, s4, s2
	s_or_b32 s1, s3, s1
	s_delay_alu instid0(SALU_CYCLE_1) | instskip(SKIP_1) | instid1(SALU_CYCLE_1)
	v_add_co_ci_u32_e64 v30, null, 0, v30, s1
	s_and_b32 s1, s2, s5
	v_add_co_ci_u32_e64 v29, null, 0, v29, s1
	s_or_b32 exec_lo, exec_lo, s6
	s_and_saveexec_b32 s5, s0
	s_cbranch_execz .LBB38_25
.LBB38_33:                              ;   in Loop: Header=BB38_3 Depth=1
	s_wait_loadcnt 0x1
	v_cmp_u_f64_e64 s2, v[24:25], v[24:25]
	s_wait_kmcnt 0x0
	v_cmp_gt_f64_e64 s0, s[24:25], v[24:25]
	v_cmp_eq_f64_e64 s1, s[24:25], v[24:25]
	s_wait_loadcnt 0x0
	v_cmp_lt_i32_e64 s4, 0, v10
	v_cmp_eq_u32_e64 s3, s34, v10
	s_delay_alu instid0(VALU_DEP_2)
	v_add_co_ci_u32_e64 v2, null, 0, v2, s4
	v_cmp_gt_i32_e64 s4, s18, v31
	v_add_co_ci_u32_e64 v28, null, 0, v28, s2
	v_cmp_lt_i32_e64 s2, s34, v10
	s_and_b32 s0, s3, s0
	s_and_b32 s1, s3, s1
	s_or_b32 s0, s2, s0
	s_delay_alu instid0(SALU_CYCLE_1) | instskip(SKIP_1) | instid1(SALU_CYCLE_1)
	v_add_co_ci_u32_e64 v30, null, 0, v30, s0
	s_and_b32 s0, s1, s4
	v_add_co_ci_u32_e64 v29, null, 0, v29, s0
	s_or_b32 exec_lo, exec_lo, s5
	s_and_saveexec_b32 s4, vcc_lo
	s_cbranch_execz .LBB38_2
.LBB38_34:                              ;   in Loop: Header=BB38_3 Depth=1
	s_wait_loadcnt 0x1
	v_cmp_u_f64_e64 s1, v[26:27], v[26:27]
	s_wait_kmcnt 0x0
	v_cmp_gt_f64_e32 vcc_lo, s[24:25], v[26:27]
	v_cmp_eq_f64_e64 s0, s[24:25], v[26:27]
	s_wait_loadcnt 0x0
	v_cmp_lt_i32_e64 s3, 0, v11
	v_cmp_eq_u32_e64 s2, s34, v11
	s_delay_alu instid0(VALU_DEP_2)
	v_add_co_ci_u32_e64 v2, null, 0, v2, s3
	v_cmp_gt_i32_e64 s3, s18, v3
	v_add_co_ci_u32_e64 v28, null, 0, v28, s1
	v_cmp_lt_i32_e64 s1, s34, v11
	s_and_b32 s5, s2, vcc_lo
	s_and_b32 s0, s2, s0
	s_or_b32 vcc_lo, s1, s5
	s_delay_alu instid0(SALU_CYCLE_1) | instskip(SKIP_1) | instid1(SALU_CYCLE_1)
	v_add_co_ci_u32_e64 v30, null, 0, v30, vcc_lo
	s_and_b32 vcc_lo, s0, s3
	v_add_co_ci_u32_e64 v29, null, 0, v29, vcc_lo
	s_branch .LBB38_2
.LBB38_35:
	v_add_nc_u32_e32 v1, v29, v30
	v_cmp_eq_u32_e64 s2, 0, v28
.LBB38_36:
	v_lshlrev_b32_e32 v3, 2, v0
	s_cmp_lt_u32 s30, 2
	ds_store_2addr_stride64_b32 v3, v2, v1 offset1:8
	s_cbranch_scc1 .LBB38_42
; %bb.37:
	s_wait_loadcnt 0x0
	v_or_b32_e32 v4, 0x800, v3
.LBB38_38:                              ; =>This Inner Loop Header: Depth=1
	s_lshr_b32 s0, s30, 1
	s_mov_b32 s1, exec_lo
	s_wait_dscnt 0x0
	s_barrier_signal -1
	s_barrier_wait -1
	v_cmpx_gt_u32_e64 s0, v0
	s_cbranch_execz .LBB38_40
; %bb.39:                               ;   in Loop: Header=BB38_38 Depth=1
	s_lshl_b32 s3, s0, 2
	s_delay_alu instid0(SALU_CYCLE_1)
	v_dual_add_nc_u32 v5, s3, v4 :: v_dual_add_nc_u32 v6, s3, v3
	ds_load_b32 v5, v5
	ds_load_b32 v6, v6
	s_wait_dscnt 0x0
	v_dual_add_nc_u32 v1, v5, v1 :: v_dual_add_nc_u32 v2, v6, v2
	ds_store_b32 v4, v1
	ds_store_b32 v3, v2
.LBB38_40:                              ;   in Loop: Header=BB38_38 Depth=1
	s_or_b32 exec_lo, exec_lo, s1
	s_cmp_lt_u32 s30, 4
	s_cbranch_scc1 .LBB38_42
; %bb.41:                               ;   in Loop: Header=BB38_38 Depth=1
	s_mov_b32 s30, s0
	s_branch .LBB38_38
.LBB38_42:
	s_mul_i32 s0, s17, 10
	s_mul_i32 s4, s16, 6
	s_ashr_i32 s1, s0, 31
	s_ashr_i32 s5, s4, 31
	s_lshl_b64 s[0:1], s[0:1], 3
	s_lshl_b64 s[4:5], s[4:5], 3
	s_add_nc_u64 s[0:1], s[12:13], s[0:1]
	s_xor_b32 s2, s2, -1
	s_add_nc_u64 s[0:1], s[0:1], s[4:5]
	s_mov_b32 s3, exec_lo
	v_cmpx_eq_u32_e32 0, v0
	s_cbranch_execz .LBB38_44
; %bb.43:
	s_wait_loadcnt 0x0
	v_dual_mov_b32 v4, s18 :: v_dual_add_nc_u32 v3, s11, v1
	s_wait_kmcnt 0x0
	v_mov_b64_e32 v[0:1], s[24:25]
	s_clause 0x2
	global_store_b32 v3, v2, s[20:21] scale_offset
	global_store_b32 v3, v4, s[22:23] scale_offset
	global_store_b64 v3, v[0:1], s[0:1] scale_offset
.LBB38_44:
	s_wait_xcnt 0x0
	s_or_b32 exec_lo, exec_lo, s3
	s_wait_storecnt 0x0
	s_wait_loadcnt_dscnt 0x0
	s_barrier_signal -1
	s_barrier_wait -1
	s_and_saveexec_b32 s3, s2
	s_cbranch_execz .LBB38_46
; %bb.45:
	v_mov_b64_e32 v[0:1], 0x7ff8000000000000
	v_mov_b32_e32 v2, 0
	s_add_nc_u64 s[0:1], s[0:1], s[14:15]
	global_store_b64 v2, v[0:1], s[0:1]
.LBB38_46:
	s_endpgm
	.section	.rodata,"a",@progbits
	.p2align	6, 0x0
	.amdhsa_kernel _ZN9rocsolver6v33100L31stedc_mergePrepare_SortD_kernelIdEEviiPT_lS3_Pi
		.amdhsa_group_segment_fixed_size 4096
		.amdhsa_private_segment_fixed_size 0
		.amdhsa_kernarg_size 296
		.amdhsa_user_sgpr_count 2
		.amdhsa_user_sgpr_dispatch_ptr 0
		.amdhsa_user_sgpr_queue_ptr 0
		.amdhsa_user_sgpr_kernarg_segment_ptr 1
		.amdhsa_user_sgpr_dispatch_id 0
		.amdhsa_user_sgpr_kernarg_preload_length 0
		.amdhsa_user_sgpr_kernarg_preload_offset 0
		.amdhsa_user_sgpr_private_segment_size 0
		.amdhsa_wavefront_size32 1
		.amdhsa_uses_dynamic_stack 0
		.amdhsa_enable_private_segment 0
		.amdhsa_system_sgpr_workgroup_id_x 1
		.amdhsa_system_sgpr_workgroup_id_y 1
		.amdhsa_system_sgpr_workgroup_id_z 0
		.amdhsa_system_sgpr_workgroup_info 0
		.amdhsa_system_vgpr_workitem_id 0
		.amdhsa_next_free_vgpr 38
		.amdhsa_next_free_sgpr 43
		.amdhsa_named_barrier_count 0
		.amdhsa_reserve_vcc 1
		.amdhsa_float_round_mode_32 0
		.amdhsa_float_round_mode_16_64 0
		.amdhsa_float_denorm_mode_32 3
		.amdhsa_float_denorm_mode_16_64 3
		.amdhsa_fp16_overflow 0
		.amdhsa_memory_ordered 1
		.amdhsa_forward_progress 1
		.amdhsa_inst_pref_size 22
		.amdhsa_round_robin_scheduling 0
		.amdhsa_exception_fp_ieee_invalid_op 0
		.amdhsa_exception_fp_denorm_src 0
		.amdhsa_exception_fp_ieee_div_zero 0
		.amdhsa_exception_fp_ieee_overflow 0
		.amdhsa_exception_fp_ieee_underflow 0
		.amdhsa_exception_fp_ieee_inexact 0
		.amdhsa_exception_int_div_zero 0
	.end_amdhsa_kernel
	.section	.text._ZN9rocsolver6v33100L31stedc_mergePrepare_SortD_kernelIdEEviiPT_lS3_Pi,"axG",@progbits,_ZN9rocsolver6v33100L31stedc_mergePrepare_SortD_kernelIdEEviiPT_lS3_Pi,comdat
.Lfunc_end38:
	.size	_ZN9rocsolver6v33100L31stedc_mergePrepare_SortD_kernelIdEEviiPT_lS3_Pi, .Lfunc_end38-_ZN9rocsolver6v33100L31stedc_mergePrepare_SortD_kernelIdEEviiPT_lS3_Pi
                                        ; -- End function
	.set _ZN9rocsolver6v33100L31stedc_mergePrepare_SortD_kernelIdEEviiPT_lS3_Pi.num_vgpr, 38
	.set _ZN9rocsolver6v33100L31stedc_mergePrepare_SortD_kernelIdEEviiPT_lS3_Pi.num_agpr, 0
	.set _ZN9rocsolver6v33100L31stedc_mergePrepare_SortD_kernelIdEEviiPT_lS3_Pi.numbered_sgpr, 43
	.set _ZN9rocsolver6v33100L31stedc_mergePrepare_SortD_kernelIdEEviiPT_lS3_Pi.num_named_barrier, 0
	.set _ZN9rocsolver6v33100L31stedc_mergePrepare_SortD_kernelIdEEviiPT_lS3_Pi.private_seg_size, 0
	.set _ZN9rocsolver6v33100L31stedc_mergePrepare_SortD_kernelIdEEviiPT_lS3_Pi.uses_vcc, 1
	.set _ZN9rocsolver6v33100L31stedc_mergePrepare_SortD_kernelIdEEviiPT_lS3_Pi.uses_flat_scratch, 0
	.set _ZN9rocsolver6v33100L31stedc_mergePrepare_SortD_kernelIdEEviiPT_lS3_Pi.has_dyn_sized_stack, 0
	.set _ZN9rocsolver6v33100L31stedc_mergePrepare_SortD_kernelIdEEviiPT_lS3_Pi.has_recursion, 0
	.set _ZN9rocsolver6v33100L31stedc_mergePrepare_SortD_kernelIdEEviiPT_lS3_Pi.has_indirect_call, 0
	.section	.AMDGPU.csdata,"",@progbits
; Kernel info:
; codeLenInByte = 2732
; TotalNumSgprs: 45
; NumVgprs: 38
; ScratchSize: 0
; MemoryBound: 0
; FloatMode: 240
; IeeeMode: 1
; LDSByteSize: 4096 bytes/workgroup (compile time only)
; SGPRBlocks: 0
; VGPRBlocks: 2
; NumSGPRsForWavesPerEU: 45
; NumVGPRsForWavesPerEU: 38
; NamedBarCnt: 0
; Occupancy: 16
; WaveLimiterHint : 1
; COMPUTE_PGM_RSRC2:SCRATCH_EN: 0
; COMPUTE_PGM_RSRC2:USER_SGPR: 2
; COMPUTE_PGM_RSRC2:TRAP_HANDLER: 0
; COMPUTE_PGM_RSRC2:TGID_X_EN: 1
; COMPUTE_PGM_RSRC2:TGID_Y_EN: 1
; COMPUTE_PGM_RSRC2:TGID_Z_EN: 0
; COMPUTE_PGM_RSRC2:TIDIG_COMP_CNT: 0
	.section	.text._ZN9rocsolver6v33100L38stedc_mergePrepare_SetCandFlags_kernelIdEEviiPT_lS3_Pi,"axG",@progbits,_ZN9rocsolver6v33100L38stedc_mergePrepare_SetCandFlags_kernelIdEEviiPT_lS3_Pi,comdat
	.globl	_ZN9rocsolver6v33100L38stedc_mergePrepare_SetCandFlags_kernelIdEEviiPT_lS3_Pi ; -- Begin function _ZN9rocsolver6v33100L38stedc_mergePrepare_SetCandFlags_kernelIdEEviiPT_lS3_Pi
	.p2align	8
	.type	_ZN9rocsolver6v33100L38stedc_mergePrepare_SetCandFlags_kernelIdEEviiPT_lS3_Pi,@function
_ZN9rocsolver6v33100L38stedc_mergePrepare_SetCandFlags_kernelIdEEviiPT_lS3_Pi: ; @_ZN9rocsolver6v33100L38stedc_mergePrepare_SetCandFlags_kernelIdEEviiPT_lS3_Pi
; %bb.0:
	s_clause 0x1
	s_load_b32 s4, s[0:1], 0x34
	s_load_b32 s2, s[0:1], 0x4
	s_bfe_u32 s3, ttmp6, 0x4000c
	s_and_b32 s5, ttmp6, 15
	s_add_co_i32 s6, s3, 1
	s_getreg_b32 s3, hwreg(HW_REG_IB_STS2, 6, 4)
	s_mul_i32 s6, ttmp9, s6
	s_delay_alu instid0(SALU_CYCLE_1) | instskip(SKIP_4) | instid1(SALU_CYCLE_1)
	s_add_co_i32 s5, s5, s6
	s_wait_kmcnt 0x0
	s_and_b32 s4, s4, 0xffff
	s_cmp_eq_u32 s3, 0
	s_cselect_b32 s5, ttmp9, s5
	v_mad_u32 v0, s5, s4, v0
	s_mov_b32 s4, exec_lo
	s_delay_alu instid0(VALU_DEP_1)
	v_cmpx_gt_i32_e64 s2, v0
	s_cbranch_execz .LBB39_6
; %bb.1:
	s_load_b128 s[4:7], s[0:1], 0x18
	s_bfe_u32 s8, ttmp6, 0x40010
	s_wait_xcnt 0x0
	s_bfe_u32 s0, ttmp6, 0x40004
	s_add_co_i32 s8, s8, 1
	s_delay_alu instid0(SALU_CYCLE_1) | instskip(NEXT) | instid1(SALU_CYCLE_1)
	s_mul_i32 s1, ttmp7, s8
	s_add_co_i32 s1, s0, s1
	s_cmp_eq_u32 s3, 0
	s_mul_i32 s0, s2, 6
	s_cselect_b32 s9, ttmp7, s1
	s_ashr_i32 s1, s0, 31
	s_mul_i32 s9, s2, s9
	s_ashr_i32 s3, s2, 31
	s_mul_i32 s10, s9, 13
	s_lshl_b64 s[0:1], s[0:1], 2
	s_ashr_i32 s11, s10, 31
	s_mul_u64 s[12:13], s[2:3], 20
	s_lshl_b64 s[10:11], s[10:11], 2
	s_lshl_b64 s[14:15], s[2:3], 4
	s_wait_kmcnt 0x0
	s_add_nc_u64 s[6:7], s[6:7], s[10:11]
	s_mul_i32 s16, s9, 10
	s_add_nc_u64 s[0:1], s[6:7], s[0:1]
	s_lshl_b32 s8, s2, 2
	s_add_nc_u64 s[6:7], s[0:1], s[12:13]
	s_sub_nc_u64 s[12:13], 0, s[14:15]
	s_ashr_i32 s17, s16, 31
	s_add_nc_u64 s[12:13], s[6:7], s[12:13]
	s_clause 0x1
	global_load_b32 v8, v0, s[0:1] scale_offset
	global_load_b32 v9, v0, s[12:13] scale_offset
	v_max_i32_e32 v1, 1, v0
	s_lshl_b64 s[10:11], s[16:17], 3
	s_ashr_i32 s9, s8, 31
	s_add_nc_u64 s[4:5], s[4:5], s[10:11]
	s_lshl_b64 s[8:9], s[8:9], 3
	s_delay_alu instid0(SALU_CYCLE_1) | instskip(NEXT) | instid1(SALU_CYCLE_1)
	s_add_nc_u64 s[8:9], s[4:5], s[8:9]
	s_add_nc_u64 s[4:5], s[8:9], s[14:15]
	s_wait_loadcnt 0x0
	v_dual_sub_nc_u32 v11, v0, v8 :: v_dual_add_nc_u32 v12, -1, v9
	v_add_nc_u32_e32 v1, -1, v1
	s_clause 0x3
	global_load_b64 v[2:3], v0, s[8:9] scale_offset
	global_load_b64 v[4:5], v0, s[4:5] scale_offset
	;; [unrolled: 1-line block ×3, first 2 shown]
	global_load_b32 v10, v1, s[0:1] scale_offset
	s_wait_xcnt 0x0
	v_ashrrev_i32_e32 v1, 31, v0
	v_cmp_lt_i32_e32 vcc_lo, v11, v12
	v_mov_b32_e32 v12, 0
	s_and_saveexec_b32 s3, vcc_lo
	s_cbranch_execz .LBB39_5
; %bb.2:
	v_add_nc_u32_e32 v12, 1, v0
	s_delay_alu instid0(VALU_DEP_1)
	v_cmp_gt_i32_e32 vcc_lo, s2, v12
	v_cndmask_b32_e32 v14, v0, v12, vcc_lo
	s_clause 0x1
	global_load_b64 v[12:13], v14, s[4:5] scale_offset
	global_load_b32 v15, v14, s[0:1] scale_offset
	s_wait_loadcnt 0x1
	v_add_f64_e64 v[12:13], v[4:5], -v[12:13]
	s_wait_loadcnt 0x0
	v_cmp_eq_u32_e32 vcc_lo, v8, v15
	s_delay_alu instid0(VALU_DEP_2) | instskip(SKIP_2) | instid1(SALU_CYCLE_1)
	v_cmp_le_f64_e64 s0, |v[12:13]|, v[2:3]
	v_mov_b32_e32 v12, 0
	s_and_b32 s1, vcc_lo, s0
	s_and_saveexec_b32 s0, s1
; %bb.3:
	s_add_co_i32 s1, s2, -1
	s_delay_alu instid0(SALU_CYCLE_1)
	v_cmp_ne_u32_e32 vcc_lo, s1, v0
	v_cndmask_b32_e64 v12, 0, 1, vcc_lo
; %bb.4:
	s_or_b32 exec_lo, exec_lo, s0
.LBB39_5:
	s_delay_alu instid0(SALU_CYCLE_1)
	s_or_b32 exec_lo, exec_lo, s3
	s_wait_loadcnt 0x1
	v_add_f64_e64 v[4:5], v[4:5], -v[6:7]
	v_cmp_lt_i32_e64 s1, 0, v0
	v_cmp_ge_i32_e32 vcc_lo, v11, v9
	s_wait_loadcnt 0x0
	v_cmp_ne_u32_e64 s0, v8, v10
	v_lshl_add_u64 v[0:1], v[0:1], 2, s[6:7]
	s_or_b32 s0, vcc_lo, s0
	v_cmp_nle_f64_e64 s2, |v[4:5]|, v[2:3]
	v_cndmask_b32_e64 v2, 0, 2, s1
	s_or_b32 s0, s0, s2
	s_delay_alu instid0(VALU_DEP_1) | instid1(SALU_CYCLE_1)
	v_cndmask_b32_e64 v2, v2, 0, s0
	s_delay_alu instid0(VALU_DEP_1)
	v_or_b32_e32 v2, v12, v2
	global_store_b32 v[0:1], v2, off
.LBB39_6:
	s_endpgm
	.section	.rodata,"a",@progbits
	.p2align	6, 0x0
	.amdhsa_kernel _ZN9rocsolver6v33100L38stedc_mergePrepare_SetCandFlags_kernelIdEEviiPT_lS3_Pi
		.amdhsa_group_segment_fixed_size 0
		.amdhsa_private_segment_fixed_size 0
		.amdhsa_kernarg_size 296
		.amdhsa_user_sgpr_count 2
		.amdhsa_user_sgpr_dispatch_ptr 0
		.amdhsa_user_sgpr_queue_ptr 0
		.amdhsa_user_sgpr_kernarg_segment_ptr 1
		.amdhsa_user_sgpr_dispatch_id 0
		.amdhsa_user_sgpr_kernarg_preload_length 0
		.amdhsa_user_sgpr_kernarg_preload_offset 0
		.amdhsa_user_sgpr_private_segment_size 0
		.amdhsa_wavefront_size32 1
		.amdhsa_uses_dynamic_stack 0
		.amdhsa_enable_private_segment 0
		.amdhsa_system_sgpr_workgroup_id_x 1
		.amdhsa_system_sgpr_workgroup_id_y 1
		.amdhsa_system_sgpr_workgroup_id_z 0
		.amdhsa_system_sgpr_workgroup_info 0
		.amdhsa_system_vgpr_workitem_id 0
		.amdhsa_next_free_vgpr 16
		.amdhsa_next_free_sgpr 18
		.amdhsa_named_barrier_count 0
		.amdhsa_reserve_vcc 1
		.amdhsa_float_round_mode_32 0
		.amdhsa_float_round_mode_16_64 0
		.amdhsa_float_denorm_mode_32 3
		.amdhsa_float_denorm_mode_16_64 3
		.amdhsa_fp16_overflow 0
		.amdhsa_memory_ordered 1
		.amdhsa_forward_progress 1
		.amdhsa_inst_pref_size 5
		.amdhsa_round_robin_scheduling 0
		.amdhsa_exception_fp_ieee_invalid_op 0
		.amdhsa_exception_fp_denorm_src 0
		.amdhsa_exception_fp_ieee_div_zero 0
		.amdhsa_exception_fp_ieee_overflow 0
		.amdhsa_exception_fp_ieee_underflow 0
		.amdhsa_exception_fp_ieee_inexact 0
		.amdhsa_exception_int_div_zero 0
	.end_amdhsa_kernel
	.section	.text._ZN9rocsolver6v33100L38stedc_mergePrepare_SetCandFlags_kernelIdEEviiPT_lS3_Pi,"axG",@progbits,_ZN9rocsolver6v33100L38stedc_mergePrepare_SetCandFlags_kernelIdEEviiPT_lS3_Pi,comdat
.Lfunc_end39:
	.size	_ZN9rocsolver6v33100L38stedc_mergePrepare_SetCandFlags_kernelIdEEviiPT_lS3_Pi, .Lfunc_end39-_ZN9rocsolver6v33100L38stedc_mergePrepare_SetCandFlags_kernelIdEEviiPT_lS3_Pi
                                        ; -- End function
	.set _ZN9rocsolver6v33100L38stedc_mergePrepare_SetCandFlags_kernelIdEEviiPT_lS3_Pi.num_vgpr, 16
	.set _ZN9rocsolver6v33100L38stedc_mergePrepare_SetCandFlags_kernelIdEEviiPT_lS3_Pi.num_agpr, 0
	.set _ZN9rocsolver6v33100L38stedc_mergePrepare_SetCandFlags_kernelIdEEviiPT_lS3_Pi.numbered_sgpr, 18
	.set _ZN9rocsolver6v33100L38stedc_mergePrepare_SetCandFlags_kernelIdEEviiPT_lS3_Pi.num_named_barrier, 0
	.set _ZN9rocsolver6v33100L38stedc_mergePrepare_SetCandFlags_kernelIdEEviiPT_lS3_Pi.private_seg_size, 0
	.set _ZN9rocsolver6v33100L38stedc_mergePrepare_SetCandFlags_kernelIdEEviiPT_lS3_Pi.uses_vcc, 1
	.set _ZN9rocsolver6v33100L38stedc_mergePrepare_SetCandFlags_kernelIdEEviiPT_lS3_Pi.uses_flat_scratch, 0
	.set _ZN9rocsolver6v33100L38stedc_mergePrepare_SetCandFlags_kernelIdEEviiPT_lS3_Pi.has_dyn_sized_stack, 0
	.set _ZN9rocsolver6v33100L38stedc_mergePrepare_SetCandFlags_kernelIdEEviiPT_lS3_Pi.has_recursion, 0
	.set _ZN9rocsolver6v33100L38stedc_mergePrepare_SetCandFlags_kernelIdEEviiPT_lS3_Pi.has_indirect_call, 0
	.section	.AMDGPU.csdata,"",@progbits
; Kernel info:
; codeLenInByte = 608
; TotalNumSgprs: 20
; NumVgprs: 16
; ScratchSize: 0
; MemoryBound: 0
; FloatMode: 240
; IeeeMode: 1
; LDSByteSize: 0 bytes/workgroup (compile time only)
; SGPRBlocks: 0
; VGPRBlocks: 0
; NumSGPRsForWavesPerEU: 20
; NumVGPRsForWavesPerEU: 16
; NamedBarCnt: 0
; Occupancy: 16
; WaveLimiterHint : 0
; COMPUTE_PGM_RSRC2:SCRATCH_EN: 0
; COMPUTE_PGM_RSRC2:USER_SGPR: 2
; COMPUTE_PGM_RSRC2:TRAP_HANDLER: 0
; COMPUTE_PGM_RSRC2:TGID_X_EN: 1
; COMPUTE_PGM_RSRC2:TGID_Y_EN: 1
; COMPUTE_PGM_RSRC2:TGID_Z_EN: 0
; COMPUTE_PGM_RSRC2:TIDIG_COMP_CNT: 0
	.section	.text._ZN9rocsolver6v33100L38stedc_mergePrepare_DeflateCount_kernelIdEEviiPT_lS3_Pi,"axG",@progbits,_ZN9rocsolver6v33100L38stedc_mergePrepare_DeflateCount_kernelIdEEviiPT_lS3_Pi,comdat
	.globl	_ZN9rocsolver6v33100L38stedc_mergePrepare_DeflateCount_kernelIdEEviiPT_lS3_Pi ; -- Begin function _ZN9rocsolver6v33100L38stedc_mergePrepare_DeflateCount_kernelIdEEviiPT_lS3_Pi
	.p2align	8
	.type	_ZN9rocsolver6v33100L38stedc_mergePrepare_DeflateCount_kernelIdEEviiPT_lS3_Pi,@function
_ZN9rocsolver6v33100L38stedc_mergePrepare_DeflateCount_kernelIdEEviiPT_lS3_Pi: ; @_ZN9rocsolver6v33100L38stedc_mergePrepare_DeflateCount_kernelIdEEviiPT_lS3_Pi
; %bb.0:
	s_clause 0x2
	s_load_b32 s2, s[0:1], 0x4
	s_load_b32 s3, s[0:1], 0x34
	s_load_b128 s[4:7], s[0:1], 0x18
	s_wait_xcnt 0x0
	s_bfe_u32 s1, ttmp6, 0x4000c
	s_bfe_u32 s8, ttmp6, 0x40010
	s_add_co_i32 s1, s1, 1
	s_add_co_i32 s8, s8, 1
	s_and_b32 s0, ttmp6, 15
	s_bfe_u32 s9, ttmp6, 0x40004
	s_mul_i32 s1, ttmp9, s1
	s_mul_i32 s8, ttmp7, s8
	s_getreg_b32 s10, hwreg(HW_REG_IB_STS2, 6, 4)
	s_add_co_i32 s0, s0, s1
	s_add_co_i32 s9, s9, s8
	s_cmp_eq_u32 s10, 0
	s_mov_b32 s24, 0
	s_cselect_b32 s1, ttmp7, s9
	s_cselect_b32 s22, ttmp9, s0
	s_mov_b32 s25, -1
	s_wait_kmcnt 0x0
	s_mul_i32 s18, s2, s1
	s_and_b32 s23, s3, 0xffff
	s_mul_i32 s0, s18, 13
	s_mul_i32 s22, s22, s23
	s_ashr_i32 s1, s0, 31
	v_add_nc_u32_e32 v2, s22, v0
	s_lshl_b64 s[10:11], s[0:1], 2
	s_mul_i32 s0, s2, 9
	s_add_nc_u64 s[8:9], s[6:7], s[10:11]
	s_ashr_i32 s1, s0, 31
	s_ashr_i32 s3, s2, 31
	s_lshl_b64 s[12:13], s[0:1], 2
	v_max_i32_e32 v1, 1, v2
	s_add_nc_u64 s[8:9], s[8:9], s[12:13]
	s_lshl_b64 s[14:15], s[2:3], 3
	s_mov_b32 s0, exec_lo
	s_add_nc_u64 s[16:17], s[8:9], s[14:15]
	v_cmpx_ge_i32_e64 s2, v1
	s_cbranch_execz .LBB40_2
; %bb.1:
	global_load_b32 v1, v1, s[16:17] offset:-4 scale_offset
	s_wait_loadcnt 0x0
	v_and_b32_e32 v1, 1, v1
	s_delay_alu instid0(VALU_DEP_1)
	v_cmp_eq_u32_e32 vcc_lo, 0, v1
	s_or_not1_b32 s25, vcc_lo, exec_lo
.LBB40_2:
	s_or_b32 exec_lo, exec_lo, s0
	v_cmp_gt_i32_e64 s0, s2, v2
	v_cmp_le_i32_e32 vcc_lo, s2, v2
	s_and_saveexec_b32 s19, s0
	s_cbranch_execz .LBB40_4
; %bb.3:
	global_load_b32 v1, v2, s[16:17] scale_offset
	s_wait_loadcnt 0x0
	v_and_b32_e32 v1, 1, v1
	s_delay_alu instid0(VALU_DEP_1)
	v_cmp_eq_u32_e64 s1, 1, v1
	s_and_b32 s24, s1, exec_lo
.LBB40_4:
	s_or_b32 exec_lo, exec_lo, s19
	s_mul_i32 s16, s18, 10
	s_mul_i32 s18, s2, 6
	s_ashr_i32 s17, s16, 31
	v_mov_b64_e32 v[4:5], 0
	s_lshl_b64 s[16:17], s[16:17], 3
	s_ashr_i32 s19, s18, 31
	s_add_nc_u64 s[20:21], s[4:5], s[16:17]
	s_lshl_b64 s[18:19], s[18:19], 3
	s_delay_alu instid0(SALU_CYCLE_1)
	s_add_nc_u64 s[20:21], s[20:21], s[18:19]
	s_and_saveexec_b32 s1, s0
	s_cbranch_execz .LBB40_6
; %bb.5:
	global_load_b64 v[4:5], v2, s[20:21] scale_offset
.LBB40_6:
	s_wait_xcnt 0x0
	s_or_b32 exec_lo, exec_lo, s1
	v_ashrrev_i32_e32 v3, 31, v2
	s_and_saveexec_b32 s0, vcc_lo
	s_delay_alu instid0(SALU_CYCLE_1) | instskip(NEXT) | instid1(SALU_CYCLE_1)
	s_xor_b32 s0, exec_lo, s0
	s_or_saveexec_b32 s0, s0
	v_mov_b64_e32 v[6:7], 0
	s_xor_b32 exec_lo, exec_lo, s0
	s_cbranch_execz .LBB40_8
; %bb.7:
	s_lshl_b64 s[26:27], s[2:3], 4
	s_delay_alu instid0(SALU_CYCLE_1) | instskip(NEXT) | instid1(SALU_CYCLE_1)
	s_sub_nc_u64 s[26:27], 0, s[26:27]
	s_add_nc_u64 s[20:21], s[20:21], s[26:27]
	global_load_b64 v[6:7], v2, s[20:21] scale_offset
.LBB40_8:
	s_wait_xcnt 0x0
	s_or_b32 exec_lo, exec_lo, s0
	s_add_nc_u64 s[0:1], s[14:15], s[10:11]
	v_dual_lshlrev_b32 v1, 3, v0 :: v_dual_lshlrev_b32 v14, 2, v0
	s_add_nc_u64 s[10:11], s[0:1], s[12:13]
	s_lshl_b32 s0, s23, 3
	s_add_nc_u64 s[6:7], s[6:7], s[10:11]
	s_add_nc_u64 s[10:11], s[16:17], s[18:19]
	v_lshl_add_u64 v[8:9], v[2:3], 2, s[6:7]
	s_add_nc_u64 s[4:5], s[4:5], s[10:11]
	v_or_b32_e32 v15, 0x8000, v14
	v_lshl_add_u64 v[10:11], v[2:3], 3, s[4:5]
	v_dual_mov_b32 v16, v1 :: v_dual_mov_b32 v17, v0
	s_mov_b32 s11, 0
	s_lshl_b32 s10, s23, 2
	s_mov_b32 s1, s11
	s_mov_b32 s3, s11
	s_branch .LBB40_10
.LBB40_9:                               ;   in Loop: Header=BB40_10 Depth=1
	s_wait_xcnt 0x0
	s_or_b32 exec_lo, exec_lo, s12
	v_add_nc_u32_e32 v17, s23, v17
	s_wait_loadcnt 0x1
	ds_store_b64 v16, v[12:13]
	s_wait_loadcnt 0x0
	ds_store_b32 v15, v18
	v_add_nc_u64_e32 v[8:9], s[10:11], v[8:9]
	v_add_nc_u64_e32 v[10:11], s[0:1], v[10:11]
	v_add_nc_u32_e32 v16, s0, v16
	v_cmp_lt_u32_e32 vcc_lo, 0xfff, v17
	v_add_nc_u32_e32 v15, s10, v15
	s_or_b32 s3, vcc_lo, s3
	s_delay_alu instid0(SALU_CYCLE_1)
	s_and_not1_b32 exec_lo, exec_lo, s3
	s_cbranch_execz .LBB40_12
.LBB40_10:                              ; =>This Inner Loop Header: Depth=1
	v_add_nc_u32_e32 v18, s22, v17
	v_mov_b64_e32 v[12:13], 0
	s_delay_alu instid0(VALU_DEP_2)
	v_cmp_gt_i32_e32 vcc_lo, s2, v18
	v_mov_b32_e32 v18, 0
	s_and_saveexec_b32 s12, vcc_lo
	s_cbranch_execz .LBB40_9
; %bb.11:                               ;   in Loop: Header=BB40_10 Depth=1
	global_load_b64 v[12:13], v[10:11], off
	global_load_b32 v18, v[8:9], off
	s_branch .LBB40_9
.LBB40_12:
	s_or_b32 exec_lo, exec_lo, s3
	v_cmp_eq_u32_e32 vcc_lo, 0, v2
	s_wait_dscnt 0x0
	s_barrier_signal -1
	s_barrier_wait -1
	s_or_b32 s0, vcc_lo, s25
	s_delay_alu instid0(SALU_CYCLE_1) | instskip(NEXT) | instid1(SALU_CYCLE_1)
	s_and_b32 s0, s24, s0
	s_and_saveexec_b32 s1, s0
	s_cbranch_execz .LBB40_20
; %bb.13:
	ds_load_b32 v8, v14 offset:32776
	s_wait_dscnt 0x0
	v_dual_add_nc_u32 v10, 2, v2 :: v_dual_bitop2_b32 v8, 2, v8 bitop3:0x40
	s_delay_alu instid0(VALU_DEP_1) | instskip(NEXT) | instid1(VALU_DEP_2)
	v_cmp_gt_i32_e32 vcc_lo, s2, v10
	v_cmp_ne_u32_e64 s0, 0, v8
	s_and_b32 s0, vcc_lo, s0
	s_delay_alu instid0(SALU_CYCLE_1)
	s_and_saveexec_b32 s3, s0
	s_cbranch_execz .LBB40_19
; %bb.14:
	v_dual_ashrrev_i32 v11, 31, v10 :: v_dual_add_nc_u32 v1, 16, v1
	v_add_nc_u32_e32 v3, 0x800c, v14
	s_mov_b64 s[0:1], src_shared_base
	s_delay_alu instid0(VALU_DEP_2) | instskip(SKIP_2) | instid1(VALU_DEP_2)
	v_lshl_add_u64 v[8:9], v[10:11], 2, s[6:7]
	v_lshl_add_u64 v[10:11], v[10:11], 3, s[4:5]
	s_mov_b32 s4, 0
	v_add_nc_u64_e32 v[8:9], 4, v[8:9]
	s_branch .LBB40_16
.LBB40_15:                              ;   in Loop: Header=BB40_16 Depth=1
	s_or_b32 exec_lo, exec_lo, s0
	v_add_nc_u32_e32 v12, 3, v0
	v_add_nc_u64_e32 v[10:11], 8, v[10:11]
	v_dual_add_nc_u32 v1, 8, v1 :: v_dual_add_nc_u32 v0, 1, v0
	s_delay_alu instid0(VALU_DEP_3)
	v_cmp_gt_i32_e32 vcc_lo, 0x1000, v12
	v_cndmask_b32_e64 v13, v9, s1, vcc_lo
	v_cndmask_b32_e32 v12, v8, v3, vcc_lo
	v_add_nc_u64_e32 v[8:9], 4, v[8:9]
	v_add_nc_u32_e32 v3, 4, v3
	flat_load_b32 v12, v[12:13]
	s_wait_xcnt 0x0
	v_add_nc_u32_e32 v13, 3, v14
	s_delay_alu instid0(VALU_DEP_1) | instskip(SKIP_2) | instid1(VALU_DEP_1)
	v_cmp_le_i32_e32 vcc_lo, s2, v13
	s_wait_loadcnt_dscnt 0x0
	v_and_b32_e32 v12, 2, v12
	v_cmp_eq_u32_e64 s0, 0, v12
	s_or_b32 s0, vcc_lo, s0
	s_delay_alu instid0(SALU_CYCLE_1) | instskip(NEXT) | instid1(SALU_CYCLE_1)
	s_and_b32 s0, exec_lo, s0
	s_or_b32 s4, s0, s4
	s_delay_alu instid0(SALU_CYCLE_1)
	s_and_not1_b32 exec_lo, exec_lo, s4
	s_cbranch_execz .LBB40_18
.LBB40_16:                              ; =>This Inner Loop Header: Depth=1
	v_add_nc_u32_e32 v12, 2, v0
	s_delay_alu instid0(VALU_DEP_1)
	v_cmp_gt_i32_e32 vcc_lo, 0x1000, v12
	v_cndmask_b32_e64 v13, v11, s1, vcc_lo
	v_cndmask_b32_e32 v12, v10, v1, vcc_lo
	flat_load_b64 v[12:13], v[12:13]
	s_wait_loadcnt_dscnt 0x0
	v_add_f64_e64 v[14:15], v[12:13], -v[4:5]
	s_delay_alu instid0(VALU_DEP_1)
	v_cmp_gt_f64_e32 vcc_lo, v[14:15], v[6:7]
	v_add_nc_u32_e32 v14, s22, v0
	s_wait_xcnt 0x0
	s_and_saveexec_b32 s0, vcc_lo
	s_cbranch_execz .LBB40_15
; %bb.17:                               ;   in Loop: Header=BB40_16 Depth=1
	s_delay_alu instid0(VALU_DEP_1) | instskip(SKIP_1) | instid1(VALU_DEP_1)
	v_add_nc_u32_e32 v16, 2, v14
	v_sub_nc_u32_e32 v4, v14, v2
	v_add_nc_u32_e32 v15, 1, v4
	v_mov_b64_e32 v[4:5], v[12:13]
	global_store_b32 v2, v15, s[8:9] scale_offset
	s_wait_xcnt 0x0
	v_mov_b32_e32 v2, v16
	s_branch .LBB40_15
.LBB40_18:
	s_or_b32 exec_lo, exec_lo, s4
	v_add3_u32 v10, s22, v0, 2
	v_ashrrev_i32_e32 v3, 31, v2
.LBB40_19:
	s_or_b32 exec_lo, exec_lo, s3
	s_delay_alu instid0(VALU_DEP_2) | instskip(NEXT) | instid1(VALU_DEP_2)
	v_xad_u32 v4, v2, -1, v10
	v_lshl_add_u64 v[0:1], v[2:3], 2, s[8:9]
	global_store_b32 v[0:1], v4, off
.LBB40_20:
	s_endpgm
	.section	.rodata,"a",@progbits
	.p2align	6, 0x0
	.amdhsa_kernel _ZN9rocsolver6v33100L38stedc_mergePrepare_DeflateCount_kernelIdEEviiPT_lS3_Pi
		.amdhsa_group_segment_fixed_size 49152
		.amdhsa_private_segment_fixed_size 0
		.amdhsa_kernarg_size 296
		.amdhsa_user_sgpr_count 2
		.amdhsa_user_sgpr_dispatch_ptr 0
		.amdhsa_user_sgpr_queue_ptr 0
		.amdhsa_user_sgpr_kernarg_segment_ptr 1
		.amdhsa_user_sgpr_dispatch_id 0
		.amdhsa_user_sgpr_kernarg_preload_length 0
		.amdhsa_user_sgpr_kernarg_preload_offset 0
		.amdhsa_user_sgpr_private_segment_size 0
		.amdhsa_wavefront_size32 1
		.amdhsa_uses_dynamic_stack 0
		.amdhsa_enable_private_segment 0
		.amdhsa_system_sgpr_workgroup_id_x 1
		.amdhsa_system_sgpr_workgroup_id_y 1
		.amdhsa_system_sgpr_workgroup_id_z 0
		.amdhsa_system_sgpr_workgroup_info 0
		.amdhsa_system_vgpr_workitem_id 0
		.amdhsa_next_free_vgpr 19
		.amdhsa_next_free_sgpr 28
		.amdhsa_named_barrier_count 0
		.amdhsa_reserve_vcc 1
		.amdhsa_float_round_mode_32 0
		.amdhsa_float_round_mode_16_64 0
		.amdhsa_float_denorm_mode_32 3
		.amdhsa_float_denorm_mode_16_64 3
		.amdhsa_fp16_overflow 0
		.amdhsa_memory_ordered 1
		.amdhsa_forward_progress 1
		.amdhsa_inst_pref_size 9
		.amdhsa_round_robin_scheduling 0
		.amdhsa_exception_fp_ieee_invalid_op 0
		.amdhsa_exception_fp_denorm_src 0
		.amdhsa_exception_fp_ieee_div_zero 0
		.amdhsa_exception_fp_ieee_overflow 0
		.amdhsa_exception_fp_ieee_underflow 0
		.amdhsa_exception_fp_ieee_inexact 0
		.amdhsa_exception_int_div_zero 0
	.end_amdhsa_kernel
	.section	.text._ZN9rocsolver6v33100L38stedc_mergePrepare_DeflateCount_kernelIdEEviiPT_lS3_Pi,"axG",@progbits,_ZN9rocsolver6v33100L38stedc_mergePrepare_DeflateCount_kernelIdEEviiPT_lS3_Pi,comdat
.Lfunc_end40:
	.size	_ZN9rocsolver6v33100L38stedc_mergePrepare_DeflateCount_kernelIdEEviiPT_lS3_Pi, .Lfunc_end40-_ZN9rocsolver6v33100L38stedc_mergePrepare_DeflateCount_kernelIdEEviiPT_lS3_Pi
                                        ; -- End function
	.set _ZN9rocsolver6v33100L38stedc_mergePrepare_DeflateCount_kernelIdEEviiPT_lS3_Pi.num_vgpr, 19
	.set _ZN9rocsolver6v33100L38stedc_mergePrepare_DeflateCount_kernelIdEEviiPT_lS3_Pi.num_agpr, 0
	.set _ZN9rocsolver6v33100L38stedc_mergePrepare_DeflateCount_kernelIdEEviiPT_lS3_Pi.numbered_sgpr, 28
	.set _ZN9rocsolver6v33100L38stedc_mergePrepare_DeflateCount_kernelIdEEviiPT_lS3_Pi.num_named_barrier, 0
	.set _ZN9rocsolver6v33100L38stedc_mergePrepare_DeflateCount_kernelIdEEviiPT_lS3_Pi.private_seg_size, 0
	.set _ZN9rocsolver6v33100L38stedc_mergePrepare_DeflateCount_kernelIdEEviiPT_lS3_Pi.uses_vcc, 1
	.set _ZN9rocsolver6v33100L38stedc_mergePrepare_DeflateCount_kernelIdEEviiPT_lS3_Pi.uses_flat_scratch, 0
	.set _ZN9rocsolver6v33100L38stedc_mergePrepare_DeflateCount_kernelIdEEviiPT_lS3_Pi.has_dyn_sized_stack, 0
	.set _ZN9rocsolver6v33100L38stedc_mergePrepare_DeflateCount_kernelIdEEviiPT_lS3_Pi.has_recursion, 0
	.set _ZN9rocsolver6v33100L38stedc_mergePrepare_DeflateCount_kernelIdEEviiPT_lS3_Pi.has_indirect_call, 0
	.section	.AMDGPU.csdata,"",@progbits
; Kernel info:
; codeLenInByte = 1104
; TotalNumSgprs: 30
; NumVgprs: 19
; ScratchSize: 0
; MemoryBound: 0
; FloatMode: 240
; IeeeMode: 1
; LDSByteSize: 49152 bytes/workgroup (compile time only)
; SGPRBlocks: 0
; VGPRBlocks: 1
; NumSGPRsForWavesPerEU: 30
; NumVGPRsForWavesPerEU: 19
; NamedBarCnt: 0
; Occupancy: 16
; WaveLimiterHint : 0
; COMPUTE_PGM_RSRC2:SCRATCH_EN: 0
; COMPUTE_PGM_RSRC2:USER_SGPR: 2
; COMPUTE_PGM_RSRC2:TRAP_HANDLER: 0
; COMPUTE_PGM_RSRC2:TGID_X_EN: 1
; COMPUTE_PGM_RSRC2:TGID_Y_EN: 1
; COMPUTE_PGM_RSRC2:TGID_Z_EN: 0
; COMPUTE_PGM_RSRC2:TIDIG_COMP_CNT: 0
	.section	.text._ZN9rocsolver6v33100L38stedc_mergePrepare_DeflateApply_kernelIdEEviiPT_lS3_Pi,"axG",@progbits,_ZN9rocsolver6v33100L38stedc_mergePrepare_DeflateApply_kernelIdEEviiPT_lS3_Pi,comdat
	.globl	_ZN9rocsolver6v33100L38stedc_mergePrepare_DeflateApply_kernelIdEEviiPT_lS3_Pi ; -- Begin function _ZN9rocsolver6v33100L38stedc_mergePrepare_DeflateApply_kernelIdEEviiPT_lS3_Pi
	.p2align	8
	.type	_ZN9rocsolver6v33100L38stedc_mergePrepare_DeflateApply_kernelIdEEviiPT_lS3_Pi,@function
_ZN9rocsolver6v33100L38stedc_mergePrepare_DeflateApply_kernelIdEEviiPT_lS3_Pi: ; @_ZN9rocsolver6v33100L38stedc_mergePrepare_DeflateApply_kernelIdEEviiPT_lS3_Pi
; %bb.0:
	s_clause 0x2
	s_load_b32 s8, s[0:1], 0x4
	s_load_b32 s2, s[0:1], 0x34
	s_load_b128 s[4:7], s[0:1], 0x18
	s_wait_xcnt 0x0
	s_bfe_u32 s1, ttmp6, 0x4000c
	s_bfe_u32 s3, ttmp6, 0x40010
	s_add_co_i32 s1, s1, 1
	s_add_co_i32 s3, s3, 1
	s_and_b32 s0, ttmp6, 15
	s_bfe_u32 s9, ttmp6, 0x40004
	s_mul_i32 s1, ttmp9, s1
	s_mul_i32 s3, ttmp7, s3
	s_getreg_b32 s10, hwreg(HW_REG_IB_STS2, 6, 4)
	s_add_co_i32 s0, s0, s1
	s_add_co_i32 s9, s9, s3
	s_cmp_eq_u32 s10, 0
	s_cselect_b32 s18, ttmp7, s9
	s_cselect_b32 s16, ttmp9, s0
	s_wait_kmcnt 0x0
	s_mul_i32 s18, s18, s8
	s_and_b32 s17, s2, 0xffff
	s_mul_i32 s2, s18, 13
	s_mul_i32 s16, s16, s17
	s_lshl_b32 s0, s8, 3
	v_add_nc_u32_e32 v2, s16, v0
	s_ashr_i32 s3, s2, 31
	s_ashr_i32 s1, s0, 31
	s_lshl_b64 s[14:15], s[2:3], 2
	s_lshl_b64 s[12:13], s[0:1], 2
	v_ashrrev_i32_e32 v3, 31, v2
	s_add_nc_u64 s[0:1], s[6:7], s[14:15]
	s_ashr_i32 s9, s8, 31
	s_add_nc_u64 s[0:1], s[0:1], s[12:13]
	s_lshl_b64 s[10:11], s[8:9], 3
	s_mov_b32 s2, exec_lo
	v_cmpx_le_i32_e64 s8, v2
	s_xor_b32 s2, exec_lo, s2
	s_delay_alu instid0(SALU_CYCLE_1)
	s_or_saveexec_b32 s19, s2
	v_mov_b32_e32 v16, 0
	s_add_nc_u64 s[2:3], s[0:1], s[10:11]
	s_xor_b32 exec_lo, exec_lo, s19
	s_cbranch_execz .LBB41_2
; %bb.1:
	s_lshl_b64 s[20:21], s[8:9], 2
	s_delay_alu instid0(SALU_CYCLE_1) | instskip(NEXT) | instid1(SALU_CYCLE_1)
	s_sub_nc_u64 s[20:21], 0, s[20:21]
	s_add_nc_u64 s[20:21], s[2:3], s[20:21]
	global_load_b32 v16, v2, s[20:21] scale_offset
.LBB41_2:
	s_wait_xcnt 0x0
	s_or_b32 exec_lo, exec_lo, s19
	s_add_nc_u64 s[14:15], s[10:11], s[14:15]
	v_dual_lshlrev_b32 v17, 2, v0 :: v_dual_lshlrev_b32 v1, 3, v0
	s_add_nc_u64 s[12:13], s[14:15], s[12:13]
	s_mul_i32 s18, s18, 10
	s_add_nc_u64 s[12:13], s[6:7], s[12:13]
	s_ashr_i32 s19, s18, 31
	v_or_b32_e32 v6, 0x8000, v17
	v_lshl_add_u64 v[2:3], v[2:3], 2, s[12:13]
	v_dual_mov_b32 v7, v1 :: v_dual_mov_b32 v8, v0
	s_lshl_b64 s[18:19], s[18:19], 3
	s_mov_b32 s7, 0
	s_add_nc_u64 s[4:5], s[4:5], s[18:19]
	s_lshl_b32 s6, s17, 2
	s_lshl_b32 s12, s17, 3
	s_mov_b32 s9, s7
	s_branch .LBB41_4
.LBB41_3:                               ;   in Loop: Header=BB41_4 Depth=1
	s_wait_xcnt 0x0
	s_or_b32 exec_lo, exec_lo, s13
	v_add_nc_u32_e32 v8, s17, v8
	ds_store_b32 v6, v9
	s_wait_loadcnt 0x0
	ds_store_b64 v7, v[4:5]
	v_add_nc_u64_e32 v[2:3], s[6:7], v[2:3]
	v_dual_add_nc_u32 v6, s6, v6 :: v_dual_add_nc_u32 v7, s12, v7
	v_cmp_lt_u32_e32 vcc_lo, 0xfff, v8
	s_or_b32 s9, vcc_lo, s9
	s_delay_alu instid0(SALU_CYCLE_1)
	s_and_not1_b32 exec_lo, exec_lo, s9
	s_cbranch_execz .LBB41_6
.LBB41_4:                               ; =>This Inner Loop Header: Depth=1
	v_add_nc_u32_e32 v9, s16, v8
	v_mov_b64_e32 v[4:5], 0
	s_delay_alu instid0(VALU_DEP_2)
	v_cmp_gt_i32_e32 vcc_lo, s8, v9
	v_mov_b32_e32 v9, 0
	s_and_saveexec_b32 s13, vcc_lo
	s_cbranch_execz .LBB41_3
; %bb.5:                                ;   in Loop: Header=BB41_4 Depth=1
	global_load_b32 v9, v[2:3], off
	s_wait_loadcnt 0x0
	global_load_b64 v[4:5], v9, s[4:5] scale_offset
	s_branch .LBB41_3
.LBB41_6:
	s_or_b32 exec_lo, exec_lo, s9
	s_wait_dscnt 0x0
	s_barrier_signal -1
	s_barrier_wait -1
	s_mov_b32 s6, exec_lo
	v_cmpx_ne_u32_e32 0, v16
	s_cbranch_execz .LBB41_22
; %bb.7:
	v_lshlrev_b32_e32 v2, 3, v0
	s_mov_b32 s12, exec_lo
	ds_load_b64 v[2:3], v2
	v_cmpx_lt_i32_e32 0, v16
	s_cbranch_execz .LBB41_21
; %bb.8:
	s_lshl_b32 s8, s8, 1
	v_mov_b64_e32 v[4:5], 0
	s_ashr_i32 s9, s8, 31
	v_dual_add_nc_u32 v18, 8, v1 :: v_dual_add_nc_u32 v20, 1, v0
	s_lshl_b64 s[8:9], s[8:9], 3
	v_add_nc_u32_e32 v19, 0x8004, v17
	v_mov_b32_e32 v21, 0
	s_add_nc_u64 s[8:9], s[4:5], s[8:9]
	s_mov_b64 s[6:7], src_shared_base
	s_add_nc_u64 s[10:11], s[8:9], s[10:11]
	s_mov_b32 s6, 0
	s_branch .LBB41_11
.LBB41_9:                               ;   in Loop: Header=BB41_11 Depth=1
	s_or_b32 exec_lo, exec_lo, s14
	s_delay_alu instid0(VALU_DEP_1)
	v_mov_b64_e32 v[2:3], v[14:15]
.LBB41_10:                              ;   in Loop: Header=BB41_11 Depth=1
	s_or_b32 exec_lo, exec_lo, s13
	v_lshlrev_b64_e32 v[8:9], 3, v[0:1]
	v_dual_add_nc_u32 v16, -1, v16 :: v_dual_add_nc_u32 v18, 8, v18
	global_store_b64 v[6:7], v[4:5], off
	v_lshl_add_u64 v[0:1], v[0:1], 2, s[0:1]
	v_dual_add_nc_u32 v19, 4, v19 :: v_dual_add_nc_u32 v20, 1, v20
	v_cmp_eq_u32_e32 vcc_lo, 0, v16
	s_wait_xcnt 0x0
	v_add_nc_u64_e32 v[6:7], s[8:9], v[8:9]
	v_add_nc_u64_e32 v[8:9], s[10:11], v[8:9]
	global_store_b32 v[0:1], v21, off
	s_clause 0x1
	global_store_b64 v[6:7], v[12:13], off
	global_store_b64 v[8:9], v[10:11], off
	s_or_b32 s6, vcc_lo, s6
	s_wait_xcnt 0x0
	s_and_not1_b32 exec_lo, exec_lo, s6
	s_cbranch_execz .LBB41_20
.LBB41_11:                              ; =>This Inner Loop Header: Depth=1
	v_cmp_gt_i32_e32 vcc_lo, 0x1000, v20
	v_add_nc_u32_e32 v0, s16, v20
	v_mov_b64_e32 v[10:11], 0
	v_mov_b64_e32 v[12:13], 1.0
	s_mov_b32 s13, exec_lo
	s_delay_alu instid0(VALU_DEP_3) | instskip(NEXT) | instid1(VALU_DEP_1)
	v_ashrrev_i32_e32 v1, 31, v0
	v_lshl_add_u64 v[0:1], v[0:1], 2, s[2:3]
	s_delay_alu instid0(VALU_DEP_1) | instskip(NEXT) | instid1(VALU_DEP_2)
	v_cndmask_b32_e64 v1, v1, s7, vcc_lo
	v_cndmask_b32_e32 v0, v0, v19, vcc_lo
	flat_load_b32 v0, v[0:1]
	s_wait_loadcnt_dscnt 0x0
	s_wait_xcnt 0x0
	v_ashrrev_i32_e32 v1, 31, v0
	s_delay_alu instid0(VALU_DEP_1) | instskip(NEXT) | instid1(VALU_DEP_1)
	v_lshl_add_u64 v[6:7], v[0:1], 3, s[4:5]
	v_cndmask_b32_e64 v9, v7, s7, vcc_lo
	s_delay_alu instid0(VALU_DEP_2)
	v_cndmask_b32_e32 v8, v6, v18, vcc_lo
	flat_load_b64 v[8:9], v[8:9]
	s_wait_loadcnt_dscnt 0x0
	s_wait_xcnt 0x0
	v_cmpx_neq_f64_e32 0, v[8:9]
	s_cbranch_execz .LBB41_10
; %bb.12:                               ;   in Loop: Header=BB41_11 Depth=1
	v_xor_b32_e32 v15, 0x80000000, v9
	v_mov_b32_e32 v14, v8
	s_mov_b32 s14, exec_lo
                                        ; implicit-def: $vgpr12_vgpr13
                                        ; implicit-def: $vgpr10_vgpr11
	v_cmpx_neq_f64_e32 0, v[2:3]
	s_xor_b32 s14, exec_lo, s14
	s_cbranch_execz .LBB41_18
; %bb.13:                               ;   in Loop: Header=BB41_11 Depth=1
	v_cmp_ngt_f64_e64 s15, |v[8:9]|, |v[2:3]|
                                        ; implicit-def: $vgpr12_vgpr13
                                        ; implicit-def: $vgpr10_vgpr11
	s_and_saveexec_b32 s17, s15
	s_delay_alu instid0(SALU_CYCLE_1)
	s_xor_b32 s15, exec_lo, s17
	s_cbranch_execz .LBB41_15
; %bb.14:                               ;   in Loop: Header=BB41_11 Depth=1
	v_div_scale_f64 v[10:11], null, v[2:3], v[2:3], -v[8:9]
	v_div_scale_f64 v[22:23], vcc_lo, -v[8:9], v[2:3], -v[8:9]
	s_delay_alu instid0(VALU_DEP_2) | instskip(SKIP_1) | instid1(TRANS32_DEP_1)
	v_rcp_f64_e32 v[12:13], v[10:11]
	v_nop
	v_fma_f64 v[14:15], -v[10:11], v[12:13], 1.0
	s_delay_alu instid0(VALU_DEP_1) | instskip(NEXT) | instid1(VALU_DEP_1)
	v_fmac_f64_e32 v[12:13], v[12:13], v[14:15]
	v_fma_f64 v[14:15], -v[10:11], v[12:13], 1.0
	s_delay_alu instid0(VALU_DEP_1) | instskip(NEXT) | instid1(VALU_DEP_1)
	v_fmac_f64_e32 v[12:13], v[12:13], v[14:15]
	v_mul_f64_e32 v[14:15], v[22:23], v[12:13]
	s_delay_alu instid0(VALU_DEP_1) | instskip(NEXT) | instid1(VALU_DEP_1)
	v_fma_f64 v[10:11], -v[10:11], v[14:15], v[22:23]
	v_div_fmas_f64 v[10:11], v[10:11], v[12:13], v[14:15]
	s_delay_alu instid0(VALU_DEP_1) | instskip(NEXT) | instid1(VALU_DEP_1)
	v_div_fixup_f64 v[10:11], v[10:11], v[2:3], -v[8:9]
	v_fma_f64 v[12:13], v[10:11], v[10:11], 1.0
	s_delay_alu instid0(VALU_DEP_1) | instskip(SKIP_1) | instid1(VALU_DEP_1)
	v_cmp_gt_f64_e32 vcc_lo, 0x10000000, v[12:13]
	v_cndmask_b32_e64 v14, 0, 0x100, vcc_lo
	v_ldexp_f64 v[12:13], v[12:13], v14
	s_delay_alu instid0(VALU_DEP_1) | instskip(SKIP_1) | instid1(TRANS32_DEP_1)
	v_rsq_f64_e32 v[14:15], v[12:13]
	v_nop
	v_mul_f64_e32 v[22:23], v[12:13], v[14:15]
	v_mul_f64_e32 v[14:15], 0.5, v[14:15]
	s_delay_alu instid0(VALU_DEP_1) | instskip(NEXT) | instid1(VALU_DEP_1)
	v_fma_f64 v[24:25], -v[14:15], v[22:23], 0.5
	v_fmac_f64_e32 v[22:23], v[22:23], v[24:25]
	v_fmac_f64_e32 v[14:15], v[14:15], v[24:25]
	s_delay_alu instid0(VALU_DEP_2) | instskip(NEXT) | instid1(VALU_DEP_1)
	v_fma_f64 v[24:25], -v[22:23], v[22:23], v[12:13]
	v_fmac_f64_e32 v[22:23], v[24:25], v[14:15]
	s_delay_alu instid0(VALU_DEP_1) | instskip(NEXT) | instid1(VALU_DEP_1)
	v_fma_f64 v[24:25], -v[22:23], v[22:23], v[12:13]
	v_fmac_f64_e32 v[22:23], v[24:25], v[14:15]
	v_cndmask_b32_e64 v14, 0, 0xffffff80, vcc_lo
	v_cmp_class_f64_e64 vcc_lo, v[12:13], 0x260
	s_delay_alu instid0(VALU_DEP_2) | instskip(NEXT) | instid1(VALU_DEP_1)
	v_ldexp_f64 v[14:15], v[22:23], v14
	v_dual_cndmask_b32 v13, v15, v13 :: v_dual_cndmask_b32 v12, v14, v12
	s_delay_alu instid0(VALU_DEP_1) | instskip(NEXT) | instid1(VALU_DEP_1)
	v_div_scale_f64 v[14:15], null, v[12:13], v[12:13], 1.0
	v_rcp_f64_e32 v[22:23], v[14:15]
	v_nop
	s_delay_alu instid0(TRANS32_DEP_1) | instskip(NEXT) | instid1(VALU_DEP_1)
	v_fma_f64 v[24:25], -v[14:15], v[22:23], 1.0
	v_fmac_f64_e32 v[22:23], v[22:23], v[24:25]
	s_delay_alu instid0(VALU_DEP_1) | instskip(NEXT) | instid1(VALU_DEP_1)
	v_fma_f64 v[24:25], -v[14:15], v[22:23], 1.0
	v_fmac_f64_e32 v[22:23], v[22:23], v[24:25]
	v_div_scale_f64 v[24:25], vcc_lo, 1.0, v[12:13], 1.0
	s_delay_alu instid0(VALU_DEP_1) | instskip(NEXT) | instid1(VALU_DEP_1)
	v_mul_f64_e32 v[26:27], v[24:25], v[22:23]
	v_fma_f64 v[14:15], -v[14:15], v[26:27], v[24:25]
	s_delay_alu instid0(VALU_DEP_1) | instskip(NEXT) | instid1(VALU_DEP_1)
	v_div_fmas_f64 v[14:15], v[14:15], v[22:23], v[26:27]
	v_div_fixup_f64 v[12:13], v[14:15], v[12:13], 1.0
	s_delay_alu instid0(VALU_DEP_1)
	v_mul_f64_e32 v[10:11], v[10:11], v[12:13]
.LBB41_15:                              ;   in Loop: Header=BB41_11 Depth=1
	s_and_not1_saveexec_b32 s15, s15
	s_cbranch_execz .LBB41_17
; %bb.16:                               ;   in Loop: Header=BB41_11 Depth=1
	v_div_scale_f64 v[10:11], null, v[8:9], v[8:9], -v[2:3]
	v_div_scale_f64 v[22:23], vcc_lo, -v[2:3], v[8:9], -v[2:3]
	s_delay_alu instid0(VALU_DEP_2) | instskip(SKIP_1) | instid1(TRANS32_DEP_1)
	v_rcp_f64_e32 v[12:13], v[10:11]
	v_nop
	v_fma_f64 v[14:15], -v[10:11], v[12:13], 1.0
	s_delay_alu instid0(VALU_DEP_1) | instskip(NEXT) | instid1(VALU_DEP_1)
	v_fmac_f64_e32 v[12:13], v[12:13], v[14:15]
	v_fma_f64 v[14:15], -v[10:11], v[12:13], 1.0
	s_delay_alu instid0(VALU_DEP_1) | instskip(NEXT) | instid1(VALU_DEP_1)
	v_fmac_f64_e32 v[12:13], v[12:13], v[14:15]
	v_mul_f64_e32 v[14:15], v[22:23], v[12:13]
	s_delay_alu instid0(VALU_DEP_1) | instskip(NEXT) | instid1(VALU_DEP_1)
	v_fma_f64 v[10:11], -v[10:11], v[14:15], v[22:23]
	v_div_fmas_f64 v[10:11], v[10:11], v[12:13], v[14:15]
	s_delay_alu instid0(VALU_DEP_1) | instskip(NEXT) | instid1(VALU_DEP_1)
	v_div_fixup_f64 v[12:13], v[10:11], v[8:9], -v[2:3]
	v_fma_f64 v[10:11], v[12:13], v[12:13], 1.0
	s_delay_alu instid0(VALU_DEP_1) | instskip(SKIP_1) | instid1(VALU_DEP_1)
	v_cmp_gt_f64_e32 vcc_lo, 0x10000000, v[10:11]
	v_cndmask_b32_e64 v14, 0, 0x100, vcc_lo
	v_ldexp_f64 v[10:11], v[10:11], v14
	s_delay_alu instid0(VALU_DEP_1) | instskip(SKIP_1) | instid1(TRANS32_DEP_1)
	v_rsq_f64_e32 v[14:15], v[10:11]
	v_nop
	v_mul_f64_e32 v[22:23], v[10:11], v[14:15]
	v_mul_f64_e32 v[14:15], 0.5, v[14:15]
	s_delay_alu instid0(VALU_DEP_1) | instskip(NEXT) | instid1(VALU_DEP_1)
	v_fma_f64 v[24:25], -v[14:15], v[22:23], 0.5
	v_fmac_f64_e32 v[22:23], v[22:23], v[24:25]
	v_fmac_f64_e32 v[14:15], v[14:15], v[24:25]
	s_delay_alu instid0(VALU_DEP_2) | instskip(NEXT) | instid1(VALU_DEP_1)
	v_fma_f64 v[24:25], -v[22:23], v[22:23], v[10:11]
	v_fmac_f64_e32 v[22:23], v[24:25], v[14:15]
	s_delay_alu instid0(VALU_DEP_1) | instskip(NEXT) | instid1(VALU_DEP_1)
	v_fma_f64 v[24:25], -v[22:23], v[22:23], v[10:11]
	v_fmac_f64_e32 v[22:23], v[24:25], v[14:15]
	v_cndmask_b32_e64 v14, 0, 0xffffff80, vcc_lo
	v_cmp_class_f64_e64 vcc_lo, v[10:11], 0x260
	s_delay_alu instid0(VALU_DEP_2) | instskip(NEXT) | instid1(VALU_DEP_1)
	v_ldexp_f64 v[14:15], v[22:23], v14
	v_dual_cndmask_b32 v11, v15, v11 :: v_dual_cndmask_b32 v10, v14, v10
	s_delay_alu instid0(VALU_DEP_1) | instskip(NEXT) | instid1(VALU_DEP_1)
	v_div_scale_f64 v[14:15], null, v[10:11], v[10:11], 1.0
	v_rcp_f64_e32 v[22:23], v[14:15]
	v_nop
	s_delay_alu instid0(TRANS32_DEP_1) | instskip(NEXT) | instid1(VALU_DEP_1)
	v_fma_f64 v[24:25], -v[14:15], v[22:23], 1.0
	v_fmac_f64_e32 v[22:23], v[22:23], v[24:25]
	s_delay_alu instid0(VALU_DEP_1) | instskip(NEXT) | instid1(VALU_DEP_1)
	v_fma_f64 v[24:25], -v[14:15], v[22:23], 1.0
	v_fmac_f64_e32 v[22:23], v[22:23], v[24:25]
	v_div_scale_f64 v[24:25], vcc_lo, 1.0, v[10:11], 1.0
	s_delay_alu instid0(VALU_DEP_1) | instskip(NEXT) | instid1(VALU_DEP_1)
	v_mul_f64_e32 v[26:27], v[24:25], v[22:23]
	v_fma_f64 v[14:15], -v[14:15], v[26:27], v[24:25]
	s_delay_alu instid0(VALU_DEP_1) | instskip(NEXT) | instid1(VALU_DEP_1)
	v_div_fmas_f64 v[14:15], v[14:15], v[22:23], v[26:27]
	v_div_fixup_f64 v[10:11], v[14:15], v[10:11], 1.0
	s_delay_alu instid0(VALU_DEP_1)
	v_mul_f64_e32 v[12:13], v[12:13], v[10:11]
.LBB41_17:                              ;   in Loop: Header=BB41_11 Depth=1
	s_or_b32 exec_lo, exec_lo, s15
	s_delay_alu instid0(VALU_DEP_1) | instskip(NEXT) | instid1(VALU_DEP_1)
	v_mul_f64_e32 v[8:9], v[8:9], v[10:11]
	v_fma_f64 v[14:15], v[2:3], v[12:13], -v[8:9]
.LBB41_18:                              ;   in Loop: Header=BB41_11 Depth=1
	s_and_not1_saveexec_b32 s14, s14
	s_cbranch_execz .LBB41_9
; %bb.19:                               ;   in Loop: Header=BB41_11 Depth=1
	v_mov_b64_e32 v[10:11], 1.0
	v_mov_b64_e32 v[12:13], 0
	s_branch .LBB41_9
.LBB41_20:
	s_or_b32 exec_lo, exec_lo, s6
.LBB41_21:
	s_delay_alu instid0(SALU_CYCLE_1)
	s_or_b32 exec_lo, exec_lo, s12
	ds_load_b32 v0, v17 offset:32768
	s_wait_dscnt 0x0
	global_store_b64 v0, v[2:3], s[4:5] scale_offset
.LBB41_22:
	s_endpgm
	.section	.rodata,"a",@progbits
	.p2align	6, 0x0
	.amdhsa_kernel _ZN9rocsolver6v33100L38stedc_mergePrepare_DeflateApply_kernelIdEEviiPT_lS3_Pi
		.amdhsa_group_segment_fixed_size 49152
		.amdhsa_private_segment_fixed_size 0
		.amdhsa_kernarg_size 296
		.amdhsa_user_sgpr_count 2
		.amdhsa_user_sgpr_dispatch_ptr 0
		.amdhsa_user_sgpr_queue_ptr 0
		.amdhsa_user_sgpr_kernarg_segment_ptr 1
		.amdhsa_user_sgpr_dispatch_id 0
		.amdhsa_user_sgpr_kernarg_preload_length 0
		.amdhsa_user_sgpr_kernarg_preload_offset 0
		.amdhsa_user_sgpr_private_segment_size 0
		.amdhsa_wavefront_size32 1
		.amdhsa_uses_dynamic_stack 0
		.amdhsa_enable_private_segment 0
		.amdhsa_system_sgpr_workgroup_id_x 1
		.amdhsa_system_sgpr_workgroup_id_y 1
		.amdhsa_system_sgpr_workgroup_id_z 0
		.amdhsa_system_sgpr_workgroup_info 0
		.amdhsa_system_vgpr_workitem_id 0
		.amdhsa_next_free_vgpr 28
		.amdhsa_next_free_sgpr 22
		.amdhsa_named_barrier_count 0
		.amdhsa_reserve_vcc 1
		.amdhsa_float_round_mode_32 0
		.amdhsa_float_round_mode_16_64 0
		.amdhsa_float_denorm_mode_32 3
		.amdhsa_float_denorm_mode_16_64 3
		.amdhsa_fp16_overflow 0
		.amdhsa_memory_ordered 1
		.amdhsa_forward_progress 1
		.amdhsa_inst_pref_size 14
		.amdhsa_round_robin_scheduling 0
		.amdhsa_exception_fp_ieee_invalid_op 0
		.amdhsa_exception_fp_denorm_src 0
		.amdhsa_exception_fp_ieee_div_zero 0
		.amdhsa_exception_fp_ieee_overflow 0
		.amdhsa_exception_fp_ieee_underflow 0
		.amdhsa_exception_fp_ieee_inexact 0
		.amdhsa_exception_int_div_zero 0
	.end_amdhsa_kernel
	.section	.text._ZN9rocsolver6v33100L38stedc_mergePrepare_DeflateApply_kernelIdEEviiPT_lS3_Pi,"axG",@progbits,_ZN9rocsolver6v33100L38stedc_mergePrepare_DeflateApply_kernelIdEEviiPT_lS3_Pi,comdat
.Lfunc_end41:
	.size	_ZN9rocsolver6v33100L38stedc_mergePrepare_DeflateApply_kernelIdEEviiPT_lS3_Pi, .Lfunc_end41-_ZN9rocsolver6v33100L38stedc_mergePrepare_DeflateApply_kernelIdEEviiPT_lS3_Pi
                                        ; -- End function
	.set _ZN9rocsolver6v33100L38stedc_mergePrepare_DeflateApply_kernelIdEEviiPT_lS3_Pi.num_vgpr, 28
	.set _ZN9rocsolver6v33100L38stedc_mergePrepare_DeflateApply_kernelIdEEviiPT_lS3_Pi.num_agpr, 0
	.set _ZN9rocsolver6v33100L38stedc_mergePrepare_DeflateApply_kernelIdEEviiPT_lS3_Pi.numbered_sgpr, 22
	.set _ZN9rocsolver6v33100L38stedc_mergePrepare_DeflateApply_kernelIdEEviiPT_lS3_Pi.num_named_barrier, 0
	.set _ZN9rocsolver6v33100L38stedc_mergePrepare_DeflateApply_kernelIdEEviiPT_lS3_Pi.private_seg_size, 0
	.set _ZN9rocsolver6v33100L38stedc_mergePrepare_DeflateApply_kernelIdEEviiPT_lS3_Pi.uses_vcc, 1
	.set _ZN9rocsolver6v33100L38stedc_mergePrepare_DeflateApply_kernelIdEEviiPT_lS3_Pi.uses_flat_scratch, 0
	.set _ZN9rocsolver6v33100L38stedc_mergePrepare_DeflateApply_kernelIdEEviiPT_lS3_Pi.has_dyn_sized_stack, 0
	.set _ZN9rocsolver6v33100L38stedc_mergePrepare_DeflateApply_kernelIdEEviiPT_lS3_Pi.has_recursion, 0
	.set _ZN9rocsolver6v33100L38stedc_mergePrepare_DeflateApply_kernelIdEEviiPT_lS3_Pi.has_indirect_call, 0
	.section	.AMDGPU.csdata,"",@progbits
; Kernel info:
; codeLenInByte = 1696
; TotalNumSgprs: 24
; NumVgprs: 28
; ScratchSize: 0
; MemoryBound: 0
; FloatMode: 240
; IeeeMode: 1
; LDSByteSize: 49152 bytes/workgroup (compile time only)
; SGPRBlocks: 0
; VGPRBlocks: 1
; NumSGPRsForWavesPerEU: 24
; NumVGPRsForWavesPerEU: 28
; NamedBarCnt: 0
; Occupancy: 16
; WaveLimiterHint : 1
; COMPUTE_PGM_RSRC2:SCRATCH_EN: 0
; COMPUTE_PGM_RSRC2:USER_SGPR: 2
; COMPUTE_PGM_RSRC2:TRAP_HANDLER: 0
; COMPUTE_PGM_RSRC2:TGID_X_EN: 1
; COMPUTE_PGM_RSRC2:TGID_Y_EN: 1
; COMPUTE_PGM_RSRC2:TGID_Z_EN: 0
; COMPUTE_PGM_RSRC2:TIDIG_COMP_CNT: 0
	.section	.text._ZN9rocsolver6v33100L24stedc_mergeRotate_kernelIdEEviiPT_iilS3_Pi,"axG",@progbits,_ZN9rocsolver6v33100L24stedc_mergeRotate_kernelIdEEviiPT_iilS3_Pi,comdat
	.globl	_ZN9rocsolver6v33100L24stedc_mergeRotate_kernelIdEEviiPT_iilS3_Pi ; -- Begin function _ZN9rocsolver6v33100L24stedc_mergeRotate_kernelIdEEviiPT_iilS3_Pi
	.p2align	8
	.type	_ZN9rocsolver6v33100L24stedc_mergeRotate_kernelIdEEviiPT_iilS3_Pi,@function
_ZN9rocsolver6v33100L24stedc_mergeRotate_kernelIdEEviiPT_iilS3_Pi: ; @_ZN9rocsolver6v33100L24stedc_mergeRotate_kernelIdEEviiPT_iilS3_Pi
; %bb.0:
	s_clause 0x2
	s_load_b32 s24, s[0:1], 0x4
	s_load_b64 s[2:3], s[0:1], 0x28
	s_load_b32 s20, s[0:1], 0x3c
	s_bfe_u32 s5, ttmp6, 0x4000c
	s_bfe_u32 s6, ttmp6, 0x40010
	s_add_co_i32 s5, s5, 1
	s_add_co_i32 s6, s6, 1
	s_and_b32 s4, ttmp6, 15
	s_bfe_u32 s7, ttmp6, 0x40004
	s_mul_i32 s5, ttmp9, s5
	s_mul_i32 s6, ttmp7, s6
	s_getreg_b32 s8, hwreg(HW_REG_IB_STS2, 6, 4)
	s_add_co_i32 s5, s4, s5
	s_add_co_i32 s7, s7, s6
	s_cmp_eq_u32 s8, 0
	s_cselect_b32 s4, ttmp7, s7
	s_cselect_b32 s12, ttmp9, s5
	s_delay_alu instid0(SALU_CYCLE_1)
	s_ashr_i32 s13, s12, 31
	s_wait_kmcnt 0x0
	s_mul_i32 s5, s4, s24
	s_mul_i32 s10, s24, 10
	;; [unrolled: 1-line block ×3, first 2 shown]
	s_ashr_i32 s25, s24, 31
	s_ashr_i32 s7, s6, 31
	;; [unrolled: 1-line block ×3, first 2 shown]
	s_lshl_b64 s[8:9], s[6:7], 2
	s_lshl_b64 s[14:15], s[24:25], 2
	;; [unrolled: 1-line block ×3, first 2 shown]
	s_add_nc_u64 s[16:17], s[2:3], s[8:9]
	s_sub_nc_u64 s[18:19], 0, s[14:15]
	s_add_nc_u64 s[14:15], s[16:17], s[6:7]
	s_lshl_b64 s[12:13], s[12:13], 2
	s_add_nc_u64 s[16:17], s[14:15], s[18:19]
	s_and_b32 s36, s20, 0xffff
	s_add_nc_u64 s[16:17], s[16:17], s[12:13]
	s_lshl_b32 s37, s36, 4
	s_load_b32 s33, s[16:17], 0x0
	s_cvt_f32_u32 s5, s37
	s_wait_xcnt 0x0
	s_mov_b32 s17, 0
	s_delay_alu instid0(SALU_CYCLE_1) | instskip(SKIP_1) | instid1(TRANS32_DEP_1)
	v_rcp_iflag_f32_e32 v1, s5
	v_nop
	v_readfirstlane_b32 s5, v1
	s_wait_kmcnt 0x0
	s_cmp_eq_u32 s33, 0
	s_cbranch_scc1 .LBB42_136
; %bb.1:
	s_mul_f32 s5, s5, 0x4f7ffffe
	s_sub_co_i32 s11, 0, s37
	s_add_co_i32 s20, s24, -1
	s_mov_b32 s19, s17
	s_cvt_u32_f32 s5, s5
	s_abs_i32 s16, s20
	s_delay_alu instid0(SALU_CYCLE_2) | instskip(NEXT) | instid1(SALU_CYCLE_1)
	s_mul_i32 s11, s11, s5
	s_mul_hi_u32 s11, s5, s11
	s_delay_alu instid0(SALU_CYCLE_1) | instskip(SKIP_2) | instid1(SALU_CYCLE_1)
	s_add_co_i32 s18, s5, s11
	s_ashr_i32 s11, s20, 31
	s_mul_u64 s[18:19], s[16:17], s[18:19]
	s_mul_i32 s5, s19, s37
	s_delay_alu instid0(SALU_CYCLE_1)
	s_sub_co_i32 s5, s16, s5
	s_add_co_i32 s16, s19, 1
	s_sub_co_i32 s17, s5, s37
	s_cmp_ge_u32 s5, s37
	s_cselect_b32 s16, s16, s19
	s_cselect_b32 s5, s17, s5
	s_add_co_i32 s17, s16, 1
	s_cmp_ge_u32 s5, s37
	s_cselect_b32 s5, s17, s16
	s_delay_alu instid0(SALU_CYCLE_1) | instskip(NEXT) | instid1(SALU_CYCLE_1)
	s_xor_b32 s5, s5, s11
	s_sub_co_i32 s38, s5, s11
	s_delay_alu instid0(SALU_CYCLE_1)
	s_cmp_lt_i32 s38, 0
	s_cbranch_scc1 .LBB42_136
; %bb.2:
	s_load_b256 s[16:23], s[0:1], 0x8
	s_wait_xcnt 0x0
	s_add_nc_u64 s[0:1], s[14:15], s[12:13]
	v_mov_b32_e32 v2, 0
	s_load_b32 s26, s[0:1], 0x0
	s_wait_xcnt 0x0
	s_mul_i32 s0, s10, s4
	s_ashr_i32 s5, s4, 31
	s_lshl_b32 s10, s24, 1
	s_ashr_i32 s1, s0, 31
	v_dual_mov_b32 v31, v2 :: v_dual_mov_b32 v32, v2
	v_dual_mov_b32 v33, v2 :: v_dual_mov_b32 v3, v2
	;; [unrolled: 1-line block ×15, first 2 shown]
	v_mov_b32_e32 v30, v2
	s_add_nc_u64 s[8:9], s[12:13], s[8:9]
	s_ashr_i32 s11, s10, 31
	s_lshl_b64 s[0:1], s[0:1], 3
	s_wait_kmcnt 0x0
	s_mul_u64 s[4:5], s[20:21], s[4:5]
	s_add_nc_u64 s[6:7], s[8:9], s[6:7]
	s_lshl_b64 s[8:9], s[10:11], 3
	s_ashr_i32 s11, s18, 31
	s_mov_b32 s10, s18
	s_add_nc_u64 s[0:1], s[22:23], s[0:1]
	s_lshl_b64 s[4:5], s[4:5], 3
	s_mul_i32 s12, s26, s19
	v_mov_b64_e32 v[66:67], v[32:33]
	s_lshl_b64 s[10:11], s[10:11], 3
	s_add_nc_u64 s[20:21], s[0:1], s[8:9]
	s_add_nc_u64 s[0:1], s[16:17], s[4:5]
	s_ashr_i32 s13, s12, 31
	v_mov_b64_e32 v[64:65], v[30:31]
	v_mov_b64_e32 v[62:63], v[28:29]
	;; [unrolled: 1-line block ×31, first 2 shown]
	s_add_nc_u64 s[16:17], s[0:1], s[10:11]
	s_lshl_b64 s[0:1], s[12:13], 3
	s_lshl_b64 s[14:15], s[24:25], 3
	s_add_nc_u64 s[26:27], s[16:17], s[0:1]
	s_cmp_gt_i32 s33, 0
	s_add_nc_u64 s[0:1], s[2:3], s[6:7]
	s_mov_b32 s25, 0
	s_add_nc_u64 s[22:23], s[20:21], s[14:15]
	s_cselect_b32 s18, -1, 0
	s_add_nc_u64 s[28:29], s[0:1], 4
	s_branch .LBB42_4
.LBB42_3:                               ;   in Loop: Header=BB42_4 Depth=1
	s_wait_xcnt 0x0
	s_or_b32 exec_lo, exec_lo, s0
	s_add_co_i32 s0, s25, 1
	s_cmp_lg_u32 s25, s38
	s_mov_b32 s25, s0
	s_cbranch_scc0 .LBB42_136
.LBB42_4:                               ; =>This Loop Header: Depth=1
                                        ;     Child Loop BB42_39 Depth 2
	v_mad_u32 v100, s25, s37, v0
	s_delay_alu instid0(VALU_DEP_1)
	v_cmp_gt_i32_e64 s0, s24, v100
	s_and_saveexec_b32 s1, s0
	s_cbranch_execz .LBB42_6
; %bb.5:                                ;   in Loop: Header=BB42_4 Depth=1
	s_wait_loadcnt 0x0
	global_load_b64 v[4:5], v100, s[26:27] scale_offset
.LBB42_6:                               ;   in Loop: Header=BB42_4 Depth=1
	s_wait_xcnt 0x0
	s_or_b32 exec_lo, exec_lo, s1
	v_add_nc_u32_e32 v102, s36, v100
	s_delay_alu instid0(VALU_DEP_1)
	v_cmp_gt_i32_e64 s1, s24, v102
	s_and_saveexec_b32 s2, s1
	s_cbranch_execz .LBB42_8
; %bb.7:                                ;   in Loop: Header=BB42_4 Depth=1
	s_wait_loadcnt 0x0
	global_load_b64 v[6:7], v102, s[26:27] scale_offset
.LBB42_8:                               ;   in Loop: Header=BB42_4 Depth=1
	s_wait_xcnt 0x0
	s_or_b32 exec_lo, exec_lo, s2
	v_add_nc_u32_e32 v104, s36, v102
	s_delay_alu instid0(VALU_DEP_1)
	v_cmp_gt_i32_e64 s2, s24, v104
	s_and_saveexec_b32 s3, s2
	s_cbranch_execz .LBB42_10
; %bb.9:                                ;   in Loop: Header=BB42_4 Depth=1
	s_wait_loadcnt 0x0
	global_load_b64 v[8:9], v104, s[26:27] scale_offset
.LBB42_10:                              ;   in Loop: Header=BB42_4 Depth=1
	s_wait_xcnt 0x0
	s_or_b32 exec_lo, exec_lo, s3
	v_add_nc_u32_e32 v106, s36, v104
	s_delay_alu instid0(VALU_DEP_1)
	v_cmp_gt_i32_e64 s3, s24, v106
	s_and_saveexec_b32 s4, s3
	s_cbranch_execz .LBB42_12
; %bb.11:                               ;   in Loop: Header=BB42_4 Depth=1
	s_wait_loadcnt 0x0
	global_load_b64 v[10:11], v106, s[26:27] scale_offset
.LBB42_12:                              ;   in Loop: Header=BB42_4 Depth=1
	s_wait_xcnt 0x0
	s_or_b32 exec_lo, exec_lo, s4
	v_add_nc_u32_e32 v108, s36, v106
	s_delay_alu instid0(VALU_DEP_1)
	v_cmp_gt_i32_e64 s4, s24, v108
	s_and_saveexec_b32 s5, s4
	s_cbranch_execz .LBB42_14
; %bb.13:                               ;   in Loop: Header=BB42_4 Depth=1
	s_wait_loadcnt 0x0
	global_load_b64 v[12:13], v108, s[26:27] scale_offset
.LBB42_14:                              ;   in Loop: Header=BB42_4 Depth=1
	;; [unrolled: 11-line block ×13, first 2 shown]
	s_wait_xcnt 0x0
	s_or_b32 exec_lo, exec_lo, s30
	s_delay_alu instid0(SALU_CYCLE_1)
	s_and_b32 vcc_lo, exec_lo, s18
	s_cbranch_vccz .LBB42_104
; %bb.37:                               ;   in Loop: Header=BB42_4 Depth=1
	v_dual_ashrrev_i32 v101, 31, v100 :: v_dual_ashrrev_i32 v103, 31, v102
	v_dual_ashrrev_i32 v105, 31, v104 :: v_dual_ashrrev_i32 v107, 31, v106
	v_dual_ashrrev_i32 v109, 31, v108 :: v_dual_ashrrev_i32 v111, 31, v110
	v_dual_ashrrev_i32 v113, 31, v112 :: v_dual_ashrrev_i32 v115, 31, v114
	v_dual_ashrrev_i32 v117, 31, v116 :: v_dual_ashrrev_i32 v119, 31, v118
	v_dual_ashrrev_i32 v121, 31, v120 :: v_dual_ashrrev_i32 v123, 31, v122
	v_dual_ashrrev_i32 v125, 31, v124 :: v_dual_ashrrev_i32 v127, 31, v126
	v_dual_ashrrev_i32 v129, 31, v128 :: v_dual_ashrrev_i32 v131, 31, v130
	s_mov_b32 s39, s33
	s_mov_b64 s[30:31], s[28:29]
	s_branch .LBB42_39
.LBB42_38:                              ;   in Loop: Header=BB42_39 Depth=2
	s_wait_xcnt 0x0
	s_or_b32 exec_lo, exec_lo, s34
	v_mul_f64_e32 v[36:37], v[134:135], v[36:37]
	v_mul_f64_e32 v[38:39], v[134:135], v[38:39]
	;; [unrolled: 1-line block ×16, first 2 shown]
	s_add_co_i32 s39, s39, -1
	s_add_nc_u64 s[30:31], s[30:31], 4
	s_cmp_eq_u32 s39, 0
	s_wait_storecnt 0x0
	s_barrier_signal -1
	s_barrier_wait -1
	v_fma_f64 v[4:5], v[132:133], v[4:5], -v[36:37]
	v_fma_f64 v[6:7], v[132:133], v[6:7], -v[38:39]
	;; [unrolled: 1-line block ×16, first 2 shown]
	v_mov_b64_e32 v[36:37], v[68:69]
	v_mov_b64_e32 v[38:39], v[70:71]
	;; [unrolled: 1-line block ×16, first 2 shown]
	s_cbranch_scc1 .LBB42_103
.LBB42_39:                              ;   Parent Loop BB42_4 Depth=1
                                        ; =>  This Inner Loop Header: Depth=2
	global_load_b32 v1, v2, s[30:31]
	s_wait_loadcnt 0x0
	s_clause 0x1
	global_load_b64 v[132:133], v1, s[20:21] scale_offset
	global_load_b64 v[134:135], v1, s[22:23] scale_offset
	v_readfirstlane_b32 s34, v1
	s_mul_i32 s34, s34, s19
	s_delay_alu instid0(SALU_CYCLE_1) | instskip(NEXT) | instid1(SALU_CYCLE_1)
	s_ashr_i32 s35, s34, 31
	s_lshl_b64 s[34:35], s[34:35], 3
	s_delay_alu instid0(SALU_CYCLE_1) | instskip(NEXT) | instid1(SALU_CYCLE_1)
	s_add_nc_u64 s[34:35], s[16:17], s[34:35]
	v_lshl_add_u64 v[70:71], v[100:101], 3, s[34:35]
	s_wait_xcnt 0x0
	s_and_saveexec_b32 s40, s0
	s_cbranch_execnz .LBB42_88
; %bb.40:                               ;   in Loop: Header=BB42_39 Depth=2
	s_or_b32 exec_lo, exec_lo, s40
	v_lshl_add_u64 v[72:73], v[102:103], 3, s[34:35]
	s_and_saveexec_b32 s40, s1
	s_cbranch_execnz .LBB42_89
.LBB42_41:                              ;   in Loop: Header=BB42_39 Depth=2
	s_or_b32 exec_lo, exec_lo, s40
	v_lshl_add_u64 v[74:75], v[104:105], 3, s[34:35]
	s_and_saveexec_b32 s40, s2
	s_cbranch_execnz .LBB42_90
.LBB42_42:                              ;   in Loop: Header=BB42_39 Depth=2
	s_or_b32 exec_lo, exec_lo, s40
	v_lshl_add_u64 v[76:77], v[106:107], 3, s[34:35]
	s_and_saveexec_b32 s40, s3
	s_cbranch_execnz .LBB42_91
.LBB42_43:                              ;   in Loop: Header=BB42_39 Depth=2
	s_or_b32 exec_lo, exec_lo, s40
	v_lshl_add_u64 v[78:79], v[108:109], 3, s[34:35]
	s_and_saveexec_b32 s40, s4
	s_cbranch_execnz .LBB42_92
.LBB42_44:                              ;   in Loop: Header=BB42_39 Depth=2
	s_or_b32 exec_lo, exec_lo, s40
	v_lshl_add_u64 v[80:81], v[110:111], 3, s[34:35]
	s_and_saveexec_b32 s40, s5
	s_cbranch_execnz .LBB42_93
.LBB42_45:                              ;   in Loop: Header=BB42_39 Depth=2
	s_or_b32 exec_lo, exec_lo, s40
	v_lshl_add_u64 v[82:83], v[112:113], 3, s[34:35]
	s_and_saveexec_b32 s40, s6
	s_cbranch_execnz .LBB42_94
.LBB42_46:                              ;   in Loop: Header=BB42_39 Depth=2
	s_or_b32 exec_lo, exec_lo, s40
	v_lshl_add_u64 v[84:85], v[114:115], 3, s[34:35]
	s_and_saveexec_b32 s40, s7
	s_cbranch_execnz .LBB42_95
.LBB42_47:                              ;   in Loop: Header=BB42_39 Depth=2
	s_or_b32 exec_lo, exec_lo, s40
	v_lshl_add_u64 v[86:87], v[116:117], 3, s[34:35]
	s_and_saveexec_b32 s40, s8
	s_cbranch_execnz .LBB42_96
.LBB42_48:                              ;   in Loop: Header=BB42_39 Depth=2
	s_or_b32 exec_lo, exec_lo, s40
	v_lshl_add_u64 v[88:89], v[118:119], 3, s[34:35]
	s_and_saveexec_b32 s40, s9
	s_cbranch_execnz .LBB42_97
.LBB42_49:                              ;   in Loop: Header=BB42_39 Depth=2
	s_or_b32 exec_lo, exec_lo, s40
	v_lshl_add_u64 v[90:91], v[120:121], 3, s[34:35]
	s_and_saveexec_b32 s40, s10
	s_cbranch_execnz .LBB42_98
.LBB42_50:                              ;   in Loop: Header=BB42_39 Depth=2
	s_or_b32 exec_lo, exec_lo, s40
	v_lshl_add_u64 v[92:93], v[122:123], 3, s[34:35]
	s_and_saveexec_b32 s40, s11
	s_cbranch_execnz .LBB42_99
.LBB42_51:                              ;   in Loop: Header=BB42_39 Depth=2
	s_or_b32 exec_lo, exec_lo, s40
	v_lshl_add_u64 v[94:95], v[124:125], 3, s[34:35]
	s_and_saveexec_b32 s40, s12
	s_cbranch_execnz .LBB42_100
.LBB42_52:                              ;   in Loop: Header=BB42_39 Depth=2
	s_or_b32 exec_lo, exec_lo, s40
	v_lshl_add_u64 v[96:97], v[126:127], 3, s[34:35]
	s_and_saveexec_b32 s40, s13
	s_cbranch_execnz .LBB42_101
.LBB42_53:                              ;   in Loop: Header=BB42_39 Depth=2
	s_or_b32 exec_lo, exec_lo, s40
	v_lshl_add_u64 v[98:99], v[128:129], 3, s[34:35]
	s_and_saveexec_b32 s40, s14
	s_cbranch_execnz .LBB42_102
.LBB42_54:                              ;   in Loop: Header=BB42_39 Depth=2
	s_or_b32 exec_lo, exec_lo, s40
	v_lshl_add_u64 v[136:137], v[130:131], 3, s[34:35]
	s_and_saveexec_b32 s34, s15
	s_cbranch_execz .LBB42_56
.LBB42_55:                              ;   in Loop: Header=BB42_39 Depth=2
	global_load_b64 v[66:67], v[136:137], off
.LBB42_56:                              ;   in Loop: Header=BB42_39 Depth=2
	s_wait_xcnt 0x0
	s_or_b32 exec_lo, exec_lo, s34
	s_wait_loadcnt 0x0
	v_mul_f64_e32 v[68:69], v[132:133], v[36:37]
	s_delay_alu instid0(VALU_DEP_1)
	v_fmac_f64_e32 v[68:69], v[134:135], v[4:5]
	s_and_saveexec_b32 s34, s0
	s_cbranch_execz .LBB42_58
; %bb.57:                               ;   in Loop: Header=BB42_39 Depth=2
	global_store_b64 v[70:71], v[68:69], off
.LBB42_58:                              ;   in Loop: Header=BB42_39 Depth=2
	s_wait_xcnt 0x0
	s_or_b32 exec_lo, exec_lo, s34
	v_mul_f64_e32 v[70:71], v[132:133], v[38:39]
	s_delay_alu instid0(VALU_DEP_1)
	v_fmac_f64_e32 v[70:71], v[134:135], v[6:7]
	s_and_saveexec_b32 s34, s1
	s_cbranch_execz .LBB42_60
; %bb.59:                               ;   in Loop: Header=BB42_39 Depth=2
	global_store_b64 v[72:73], v[70:71], off
.LBB42_60:                              ;   in Loop: Header=BB42_39 Depth=2
	s_wait_xcnt 0x0
	s_or_b32 exec_lo, exec_lo, s34
	;; [unrolled: 10-line block ×15, first 2 shown]
	v_mul_f64_e32 v[98:99], v[132:133], v[66:67]
	s_delay_alu instid0(VALU_DEP_1)
	v_fmac_f64_e32 v[98:99], v[134:135], v[34:35]
	s_and_saveexec_b32 s34, s15
	s_cbranch_execz .LBB42_38
; %bb.87:                               ;   in Loop: Header=BB42_39 Depth=2
	global_store_b64 v[136:137], v[98:99], off
	s_branch .LBB42_38
.LBB42_88:                              ;   in Loop: Header=BB42_39 Depth=2
	global_load_b64 v[36:37], v[70:71], off
	s_wait_xcnt 0x0
	s_or_b32 exec_lo, exec_lo, s40
	v_lshl_add_u64 v[72:73], v[102:103], 3, s[34:35]
	s_and_saveexec_b32 s40, s1
	s_cbranch_execz .LBB42_41
.LBB42_89:                              ;   in Loop: Header=BB42_39 Depth=2
	global_load_b64 v[38:39], v[72:73], off
	s_wait_xcnt 0x0
	s_or_b32 exec_lo, exec_lo, s40
	v_lshl_add_u64 v[74:75], v[104:105], 3, s[34:35]
	s_and_saveexec_b32 s40, s2
	s_cbranch_execz .LBB42_42
.LBB42_90:                              ;   in Loop: Header=BB42_39 Depth=2
	global_load_b64 v[40:41], v[74:75], off
	s_wait_xcnt 0x0
	s_or_b32 exec_lo, exec_lo, s40
	v_lshl_add_u64 v[76:77], v[106:107], 3, s[34:35]
	s_and_saveexec_b32 s40, s3
	s_cbranch_execz .LBB42_43
.LBB42_91:                              ;   in Loop: Header=BB42_39 Depth=2
	global_load_b64 v[42:43], v[76:77], off
	s_wait_xcnt 0x0
	s_or_b32 exec_lo, exec_lo, s40
	v_lshl_add_u64 v[78:79], v[108:109], 3, s[34:35]
	s_and_saveexec_b32 s40, s4
	s_cbranch_execz .LBB42_44
.LBB42_92:                              ;   in Loop: Header=BB42_39 Depth=2
	global_load_b64 v[44:45], v[78:79], off
	s_wait_xcnt 0x0
	s_or_b32 exec_lo, exec_lo, s40
	v_lshl_add_u64 v[80:81], v[110:111], 3, s[34:35]
	s_and_saveexec_b32 s40, s5
	s_cbranch_execz .LBB42_45
.LBB42_93:                              ;   in Loop: Header=BB42_39 Depth=2
	global_load_b64 v[46:47], v[80:81], off
	s_wait_xcnt 0x0
	s_or_b32 exec_lo, exec_lo, s40
	v_lshl_add_u64 v[82:83], v[112:113], 3, s[34:35]
	s_and_saveexec_b32 s40, s6
	s_cbranch_execz .LBB42_46
.LBB42_94:                              ;   in Loop: Header=BB42_39 Depth=2
	global_load_b64 v[48:49], v[82:83], off
	s_wait_xcnt 0x0
	s_or_b32 exec_lo, exec_lo, s40
	v_lshl_add_u64 v[84:85], v[114:115], 3, s[34:35]
	s_and_saveexec_b32 s40, s7
	s_cbranch_execz .LBB42_47
.LBB42_95:                              ;   in Loop: Header=BB42_39 Depth=2
	global_load_b64 v[50:51], v[84:85], off
	s_wait_xcnt 0x0
	s_or_b32 exec_lo, exec_lo, s40
	v_lshl_add_u64 v[86:87], v[116:117], 3, s[34:35]
	s_and_saveexec_b32 s40, s8
	s_cbranch_execz .LBB42_48
.LBB42_96:                              ;   in Loop: Header=BB42_39 Depth=2
	global_load_b64 v[52:53], v[86:87], off
	s_wait_xcnt 0x0
	s_or_b32 exec_lo, exec_lo, s40
	v_lshl_add_u64 v[88:89], v[118:119], 3, s[34:35]
	s_and_saveexec_b32 s40, s9
	s_cbranch_execz .LBB42_49
.LBB42_97:                              ;   in Loop: Header=BB42_39 Depth=2
	global_load_b64 v[54:55], v[88:89], off
	s_wait_xcnt 0x0
	s_or_b32 exec_lo, exec_lo, s40
	v_lshl_add_u64 v[90:91], v[120:121], 3, s[34:35]
	s_and_saveexec_b32 s40, s10
	s_cbranch_execz .LBB42_50
.LBB42_98:                              ;   in Loop: Header=BB42_39 Depth=2
	global_load_b64 v[56:57], v[90:91], off
	s_wait_xcnt 0x0
	s_or_b32 exec_lo, exec_lo, s40
	v_lshl_add_u64 v[92:93], v[122:123], 3, s[34:35]
	s_and_saveexec_b32 s40, s11
	s_cbranch_execz .LBB42_51
.LBB42_99:                              ;   in Loop: Header=BB42_39 Depth=2
	global_load_b64 v[58:59], v[92:93], off
	s_wait_xcnt 0x0
	s_or_b32 exec_lo, exec_lo, s40
	v_lshl_add_u64 v[94:95], v[124:125], 3, s[34:35]
	s_and_saveexec_b32 s40, s12
	s_cbranch_execz .LBB42_52
.LBB42_100:                             ;   in Loop: Header=BB42_39 Depth=2
	global_load_b64 v[60:61], v[94:95], off
	s_wait_xcnt 0x0
	s_or_b32 exec_lo, exec_lo, s40
	v_lshl_add_u64 v[96:97], v[126:127], 3, s[34:35]
	s_and_saveexec_b32 s40, s13
	s_cbranch_execz .LBB42_53
.LBB42_101:                             ;   in Loop: Header=BB42_39 Depth=2
	global_load_b64 v[62:63], v[96:97], off
	s_wait_xcnt 0x0
	s_or_b32 exec_lo, exec_lo, s40
	v_lshl_add_u64 v[98:99], v[128:129], 3, s[34:35]
	s_and_saveexec_b32 s40, s14
	s_cbranch_execz .LBB42_54
.LBB42_102:                             ;   in Loop: Header=BB42_39 Depth=2
	global_load_b64 v[64:65], v[98:99], off
	s_wait_xcnt 0x0
	s_or_b32 exec_lo, exec_lo, s40
	v_lshl_add_u64 v[136:137], v[130:131], 3, s[34:35]
	s_and_saveexec_b32 s34, s15
	s_cbranch_execnz .LBB42_55
	s_branch .LBB42_56
.LBB42_103:                             ;   in Loop: Header=BB42_4 Depth=1
	v_mov_b64_e32 v[36:37], v[68:69]
	v_mov_b64_e32 v[38:39], v[70:71]
	;; [unrolled: 1-line block ×16, first 2 shown]
.LBB42_104:                             ;   in Loop: Header=BB42_4 Depth=1
	s_and_saveexec_b32 s30, s0
	s_cbranch_execnz .LBB42_120
; %bb.105:                              ;   in Loop: Header=BB42_4 Depth=1
	s_or_b32 exec_lo, exec_lo, s30
	s_and_saveexec_b32 s0, s1
	s_cbranch_execnz .LBB42_121
.LBB42_106:                             ;   in Loop: Header=BB42_4 Depth=1
	s_or_b32 exec_lo, exec_lo, s0
	s_and_saveexec_b32 s0, s2
	s_cbranch_execnz .LBB42_122
.LBB42_107:                             ;   in Loop: Header=BB42_4 Depth=1
	s_or_b32 exec_lo, exec_lo, s0
	s_and_saveexec_b32 s0, s3
	s_cbranch_execnz .LBB42_123
.LBB42_108:                             ;   in Loop: Header=BB42_4 Depth=1
	s_or_b32 exec_lo, exec_lo, s0
	s_and_saveexec_b32 s0, s4
	s_cbranch_execnz .LBB42_124
.LBB42_109:                             ;   in Loop: Header=BB42_4 Depth=1
	s_or_b32 exec_lo, exec_lo, s0
	s_and_saveexec_b32 s0, s5
	s_cbranch_execnz .LBB42_125
.LBB42_110:                             ;   in Loop: Header=BB42_4 Depth=1
	s_or_b32 exec_lo, exec_lo, s0
	s_and_saveexec_b32 s0, s6
	s_cbranch_execnz .LBB42_126
.LBB42_111:                             ;   in Loop: Header=BB42_4 Depth=1
	s_or_b32 exec_lo, exec_lo, s0
	s_and_saveexec_b32 s0, s7
	s_cbranch_execnz .LBB42_127
.LBB42_112:                             ;   in Loop: Header=BB42_4 Depth=1
	s_or_b32 exec_lo, exec_lo, s0
	s_and_saveexec_b32 s0, s8
	s_cbranch_execnz .LBB42_128
.LBB42_113:                             ;   in Loop: Header=BB42_4 Depth=1
	s_or_b32 exec_lo, exec_lo, s0
	s_and_saveexec_b32 s0, s9
	s_cbranch_execnz .LBB42_129
.LBB42_114:                             ;   in Loop: Header=BB42_4 Depth=1
	s_or_b32 exec_lo, exec_lo, s0
	s_and_saveexec_b32 s0, s10
	s_cbranch_execnz .LBB42_130
.LBB42_115:                             ;   in Loop: Header=BB42_4 Depth=1
	s_or_b32 exec_lo, exec_lo, s0
	s_and_saveexec_b32 s0, s11
	s_cbranch_execnz .LBB42_131
.LBB42_116:                             ;   in Loop: Header=BB42_4 Depth=1
	s_or_b32 exec_lo, exec_lo, s0
	s_and_saveexec_b32 s0, s12
	s_cbranch_execnz .LBB42_132
.LBB42_117:                             ;   in Loop: Header=BB42_4 Depth=1
	s_or_b32 exec_lo, exec_lo, s0
	s_and_saveexec_b32 s0, s13
	s_cbranch_execnz .LBB42_133
.LBB42_118:                             ;   in Loop: Header=BB42_4 Depth=1
	s_or_b32 exec_lo, exec_lo, s0
	s_and_saveexec_b32 s0, s14
	s_cbranch_execnz .LBB42_134
.LBB42_119:                             ;   in Loop: Header=BB42_4 Depth=1
	s_or_b32 exec_lo, exec_lo, s0
	s_and_saveexec_b32 s0, s15
	s_cbranch_execz .LBB42_3
	s_branch .LBB42_135
.LBB42_120:                             ;   in Loop: Header=BB42_4 Depth=1
	s_wait_loadcnt 0x0
	global_store_b64 v100, v[4:5], s[26:27] scale_offset
	s_wait_xcnt 0x0
	s_or_b32 exec_lo, exec_lo, s30
	s_and_saveexec_b32 s0, s1
	s_cbranch_execz .LBB42_106
.LBB42_121:                             ;   in Loop: Header=BB42_4 Depth=1
	s_wait_loadcnt 0x0
	global_store_b64 v102, v[6:7], s[26:27] scale_offset
	s_wait_xcnt 0x0
	s_or_b32 exec_lo, exec_lo, s0
	s_and_saveexec_b32 s0, s2
	s_cbranch_execz .LBB42_107
.LBB42_122:                             ;   in Loop: Header=BB42_4 Depth=1
	s_wait_loadcnt 0x0
	global_store_b64 v104, v[8:9], s[26:27] scale_offset
	s_wait_xcnt 0x0
	s_or_b32 exec_lo, exec_lo, s0
	s_and_saveexec_b32 s0, s3
	s_cbranch_execz .LBB42_108
.LBB42_123:                             ;   in Loop: Header=BB42_4 Depth=1
	s_wait_loadcnt 0x0
	global_store_b64 v106, v[10:11], s[26:27] scale_offset
	s_wait_xcnt 0x0
	s_or_b32 exec_lo, exec_lo, s0
	s_and_saveexec_b32 s0, s4
	s_cbranch_execz .LBB42_109
.LBB42_124:                             ;   in Loop: Header=BB42_4 Depth=1
	s_wait_loadcnt 0x0
	global_store_b64 v108, v[12:13], s[26:27] scale_offset
	s_wait_xcnt 0x0
	s_or_b32 exec_lo, exec_lo, s0
	s_and_saveexec_b32 s0, s5
	s_cbranch_execz .LBB42_110
.LBB42_125:                             ;   in Loop: Header=BB42_4 Depth=1
	s_wait_loadcnt 0x0
	global_store_b64 v110, v[14:15], s[26:27] scale_offset
	s_wait_xcnt 0x0
	s_or_b32 exec_lo, exec_lo, s0
	s_and_saveexec_b32 s0, s6
	s_cbranch_execz .LBB42_111
.LBB42_126:                             ;   in Loop: Header=BB42_4 Depth=1
	s_wait_loadcnt 0x0
	global_store_b64 v112, v[16:17], s[26:27] scale_offset
	s_wait_xcnt 0x0
	s_or_b32 exec_lo, exec_lo, s0
	s_and_saveexec_b32 s0, s7
	s_cbranch_execz .LBB42_112
.LBB42_127:                             ;   in Loop: Header=BB42_4 Depth=1
	s_wait_loadcnt 0x0
	global_store_b64 v114, v[18:19], s[26:27] scale_offset
	s_wait_xcnt 0x0
	s_or_b32 exec_lo, exec_lo, s0
	s_and_saveexec_b32 s0, s8
	s_cbranch_execz .LBB42_113
.LBB42_128:                             ;   in Loop: Header=BB42_4 Depth=1
	s_wait_loadcnt 0x0
	global_store_b64 v116, v[20:21], s[26:27] scale_offset
	s_wait_xcnt 0x0
	s_or_b32 exec_lo, exec_lo, s0
	s_and_saveexec_b32 s0, s9
	s_cbranch_execz .LBB42_114
.LBB42_129:                             ;   in Loop: Header=BB42_4 Depth=1
	s_wait_loadcnt 0x0
	global_store_b64 v118, v[22:23], s[26:27] scale_offset
	s_wait_xcnt 0x0
	s_or_b32 exec_lo, exec_lo, s0
	s_and_saveexec_b32 s0, s10
	s_cbranch_execz .LBB42_115
.LBB42_130:                             ;   in Loop: Header=BB42_4 Depth=1
	s_wait_loadcnt 0x0
	global_store_b64 v120, v[24:25], s[26:27] scale_offset
	s_wait_xcnt 0x0
	s_or_b32 exec_lo, exec_lo, s0
	s_and_saveexec_b32 s0, s11
	s_cbranch_execz .LBB42_116
.LBB42_131:                             ;   in Loop: Header=BB42_4 Depth=1
	s_wait_loadcnt 0x0
	global_store_b64 v122, v[26:27], s[26:27] scale_offset
	s_wait_xcnt 0x0
	s_or_b32 exec_lo, exec_lo, s0
	s_and_saveexec_b32 s0, s12
	s_cbranch_execz .LBB42_117
.LBB42_132:                             ;   in Loop: Header=BB42_4 Depth=1
	s_wait_loadcnt 0x0
	global_store_b64 v124, v[28:29], s[26:27] scale_offset
	s_wait_xcnt 0x0
	s_or_b32 exec_lo, exec_lo, s0
	s_and_saveexec_b32 s0, s13
	s_cbranch_execz .LBB42_118
.LBB42_133:                             ;   in Loop: Header=BB42_4 Depth=1
	s_wait_loadcnt 0x0
	global_store_b64 v126, v[30:31], s[26:27] scale_offset
	s_wait_xcnt 0x0
	s_or_b32 exec_lo, exec_lo, s0
	s_and_saveexec_b32 s0, s14
	s_cbranch_execz .LBB42_119
.LBB42_134:                             ;   in Loop: Header=BB42_4 Depth=1
	s_wait_loadcnt 0x0
	global_store_b64 v128, v[32:33], s[26:27] scale_offset
	s_wait_xcnt 0x0
	s_or_b32 exec_lo, exec_lo, s0
	s_and_saveexec_b32 s0, s15
	s_cbranch_execz .LBB42_3
.LBB42_135:                             ;   in Loop: Header=BB42_4 Depth=1
	s_wait_loadcnt 0x0
	global_store_b64 v130, v[34:35], s[26:27] scale_offset
	s_branch .LBB42_3
.LBB42_136:
	s_sendmsg sendmsg(MSG_DEALLOC_VGPRS)
	s_endpgm
	.section	.rodata,"a",@progbits
	.p2align	6, 0x0
	.amdhsa_kernel _ZN9rocsolver6v33100L24stedc_mergeRotate_kernelIdEEviiPT_iilS3_Pi
		.amdhsa_group_segment_fixed_size 0
		.amdhsa_private_segment_fixed_size 0
		.amdhsa_kernarg_size 304
		.amdhsa_user_sgpr_count 2
		.amdhsa_user_sgpr_dispatch_ptr 0
		.amdhsa_user_sgpr_queue_ptr 0
		.amdhsa_user_sgpr_kernarg_segment_ptr 1
		.amdhsa_user_sgpr_dispatch_id 0
		.amdhsa_user_sgpr_kernarg_preload_length 0
		.amdhsa_user_sgpr_kernarg_preload_offset 0
		.amdhsa_user_sgpr_private_segment_size 0
		.amdhsa_wavefront_size32 1
		.amdhsa_uses_dynamic_stack 0
		.amdhsa_enable_private_segment 0
		.amdhsa_system_sgpr_workgroup_id_x 1
		.amdhsa_system_sgpr_workgroup_id_y 1
		.amdhsa_system_sgpr_workgroup_id_z 0
		.amdhsa_system_sgpr_workgroup_info 0
		.amdhsa_system_vgpr_workitem_id 0
		.amdhsa_next_free_vgpr 138
		.amdhsa_next_free_sgpr 41
		.amdhsa_named_barrier_count 0
		.amdhsa_reserve_vcc 1
		.amdhsa_float_round_mode_32 0
		.amdhsa_float_round_mode_16_64 0
		.amdhsa_float_denorm_mode_32 3
		.amdhsa_float_denorm_mode_16_64 3
		.amdhsa_fp16_overflow 0
		.amdhsa_memory_ordered 1
		.amdhsa_forward_progress 1
		.amdhsa_inst_pref_size 34
		.amdhsa_round_robin_scheduling 0
		.amdhsa_exception_fp_ieee_invalid_op 0
		.amdhsa_exception_fp_denorm_src 0
		.amdhsa_exception_fp_ieee_div_zero 0
		.amdhsa_exception_fp_ieee_overflow 0
		.amdhsa_exception_fp_ieee_underflow 0
		.amdhsa_exception_fp_ieee_inexact 0
		.amdhsa_exception_int_div_zero 0
	.end_amdhsa_kernel
	.section	.text._ZN9rocsolver6v33100L24stedc_mergeRotate_kernelIdEEviiPT_iilS3_Pi,"axG",@progbits,_ZN9rocsolver6v33100L24stedc_mergeRotate_kernelIdEEviiPT_iilS3_Pi,comdat
.Lfunc_end42:
	.size	_ZN9rocsolver6v33100L24stedc_mergeRotate_kernelIdEEviiPT_iilS3_Pi, .Lfunc_end42-_ZN9rocsolver6v33100L24stedc_mergeRotate_kernelIdEEviiPT_iilS3_Pi
                                        ; -- End function
	.set _ZN9rocsolver6v33100L24stedc_mergeRotate_kernelIdEEviiPT_iilS3_Pi.num_vgpr, 138
	.set _ZN9rocsolver6v33100L24stedc_mergeRotate_kernelIdEEviiPT_iilS3_Pi.num_agpr, 0
	.set _ZN9rocsolver6v33100L24stedc_mergeRotate_kernelIdEEviiPT_iilS3_Pi.numbered_sgpr, 41
	.set _ZN9rocsolver6v33100L24stedc_mergeRotate_kernelIdEEviiPT_iilS3_Pi.num_named_barrier, 0
	.set _ZN9rocsolver6v33100L24stedc_mergeRotate_kernelIdEEviiPT_iilS3_Pi.private_seg_size, 0
	.set _ZN9rocsolver6v33100L24stedc_mergeRotate_kernelIdEEviiPT_iilS3_Pi.uses_vcc, 1
	.set _ZN9rocsolver6v33100L24stedc_mergeRotate_kernelIdEEviiPT_iilS3_Pi.uses_flat_scratch, 0
	.set _ZN9rocsolver6v33100L24stedc_mergeRotate_kernelIdEEviiPT_iilS3_Pi.has_dyn_sized_stack, 0
	.set _ZN9rocsolver6v33100L24stedc_mergeRotate_kernelIdEEviiPT_iilS3_Pi.has_recursion, 0
	.set _ZN9rocsolver6v33100L24stedc_mergeRotate_kernelIdEEviiPT_iilS3_Pi.has_indirect_call, 0
	.section	.AMDGPU.csdata,"",@progbits
; Kernel info:
; codeLenInByte = 4332
; TotalNumSgprs: 43
; NumVgprs: 138
; ScratchSize: 0
; MemoryBound: 0
; FloatMode: 240
; IeeeMode: 1
; LDSByteSize: 0 bytes/workgroup (compile time only)
; SGPRBlocks: 0
; VGPRBlocks: 8
; NumSGPRsForWavesPerEU: 43
; NumVGPRsForWavesPerEU: 138
; NamedBarCnt: 0
; Occupancy: 7
; WaveLimiterHint : 1
; COMPUTE_PGM_RSRC2:SCRATCH_EN: 0
; COMPUTE_PGM_RSRC2:USER_SGPR: 2
; COMPUTE_PGM_RSRC2:TRAP_HANDLER: 0
; COMPUTE_PGM_RSRC2:TGID_X_EN: 1
; COMPUTE_PGM_RSRC2:TGID_Y_EN: 1
; COMPUTE_PGM_RSRC2:TGID_Z_EN: 0
; COMPUTE_PGM_RSRC2:TIDIG_COMP_CNT: 0
	.section	.text._ZN9rocsolver6v33100L31stedc_mergeValues_SortDZ_kernelIdEEviiPT_lS3_Pi,"axG",@progbits,_ZN9rocsolver6v33100L31stedc_mergeValues_SortDZ_kernelIdEEviiPT_lS3_Pi,comdat
	.globl	_ZN9rocsolver6v33100L31stedc_mergeValues_SortDZ_kernelIdEEviiPT_lS3_Pi ; -- Begin function _ZN9rocsolver6v33100L31stedc_mergeValues_SortDZ_kernelIdEEviiPT_lS3_Pi
	.p2align	8
	.type	_ZN9rocsolver6v33100L31stedc_mergeValues_SortDZ_kernelIdEEviiPT_lS3_Pi,@function
_ZN9rocsolver6v33100L31stedc_mergeValues_SortDZ_kernelIdEEviiPT_lS3_Pi: ; @_ZN9rocsolver6v33100L31stedc_mergeValues_SortDZ_kernelIdEEviiPT_lS3_Pi
; %bb.0:
	s_clause 0x1
	s_load_b32 s12, s[0:1], 0x4
	s_load_b256 s[4:11], s[0:1], 0x8
	s_bfe_u32 s3, ttmp6, 0x4000c
	s_bfe_u32 s13, ttmp6, 0x40010
	s_add_co_i32 s3, s3, 1
	s_add_co_i32 s13, s13, 1
	s_and_b32 s2, ttmp6, 15
	s_bfe_u32 s14, ttmp6, 0x40004
	s_mul_i32 s3, ttmp9, s3
	s_mul_i32 s13, ttmp7, s13
	s_getreg_b32 s15, hwreg(HW_REG_IB_STS2, 6, 4)
	s_add_co_i32 s3, s2, s3
	s_add_co_i32 s14, s14, s13
	s_load_b32 s33, s[0:1], 0x34
	s_mov_b32 s34, 0xbff00000
	s_mov_b32 s40, 0
	v_mov_b32_e32 v3, 0
	s_wait_kmcnt 0x0
	s_ashr_i32 s13, s12, 31
	s_cmp_eq_u32 s15, 0
	s_cselect_b32 s2, ttmp7, s14
	s_mul_i32 s14, s12, 7
	s_mul_i32 s30, s12, s2
	s_cselect_b32 s18, ttmp9, s3
	s_mul_i32 s16, s30, 10
	s_ashr_i32 s15, s14, 31
	s_ashr_i32 s17, s16, 31
	s_lshl_b64 s[14:15], s[14:15], 3
	s_lshl_b64 s[16:17], s[16:17], 3
	;; [unrolled: 1-line block ×3, first 2 shown]
	s_add_nc_u64 s[8:9], s[8:9], s[16:17]
	s_ashr_i32 s19, s18, 31
	s_add_nc_u64 s[14:15], s[8:9], s[14:15]
	s_lshl_b64 s[16:17], s[18:19], 3
	s_add_nc_u64 s[20:21], s[14:15], s[28:29]
	s_ashr_i32 s3, s2, 31
	s_add_nc_u64 s[22:23], s[20:21], s[28:29]
	s_mul_u64 s[2:3], s[6:7], s[2:3]
	s_add_nc_u64 s[24:25], s[22:23], s[16:17]
	s_mul_i32 s6, s30, 13
	s_load_b64 s[24:25], s[24:25], 0x0
	s_lshl_b32 s26, s12, 3
	s_ashr_i32 s7, s6, 31
	s_ashr_i32 s27, s26, 31
	s_lshl_b64 s[2:3], s[2:3], 3
	s_lshl_b64 s[6:7], s[6:7], 2
	;; [unrolled: 1-line block ×3, first 2 shown]
	s_add_nc_u64 s[36:37], s[4:5], s[2:3]
	s_add_nc_u64 s[2:3], s[10:11], s[6:7]
	;; [unrolled: 1-line block ×4, first 2 shown]
	s_load_b64 s[26:27], s[4:5], 0x0
	s_add_nc_u64 s[28:29], s[38:39], s[28:29]
	s_wait_kmcnt 0x0
	v_cmp_lt_f64_e64 s31, s[24:25], 0
	s_mov_b64 s[24:25], 0xffffffffffffffec
	s_delay_alu instid0(SALU_CYCLE_1)
	s_mul_u64 s[0:1], s[12:13], s[24:25]
	s_lshl_b64 s[24:25], s[12:13], 2
	s_and_b32 s2, s31, exec_lo
	s_cselect_b32 s41, s34, 0x3ff00000
	s_and_b32 s33, s33, 0xffff
	s_add_nc_u64 s[2:3], s[28:29], s[0:1]
	s_lshl_b32 s42, s33, 3
	s_lshl_b64 s[0:1], s[18:19], 2
	s_cvt_f32_u32 s6, s42
	s_add_nc_u64 s[4:5], s[2:3], s[0:1]
	s_add_nc_u64 s[30:31], s[2:3], s[24:25]
	s_load_b32 s19, s[4:5], 0x0
	v_rcp_iflag_f32_e32 v1, s6
	s_add_nc_u64 s[2:3], s[30:31], s[0:1]
	v_mul_f64_e64 v[12:13], s[26:27], s[40:41]
	s_load_b32 s11, s[2:3], 0x0
	s_wait_xcnt 0x0
	s_sub_co_i32 s5, 0, s42
	s_delay_alu instid0(TRANS32_DEP_1) | instskip(SKIP_2) | instid1(SALU_CYCLE_3)
	v_readfirstlane_b32 s4, v1
	v_mov_b32_e32 v1, 0
	s_mul_f32 s4, s4, 0x4f7ffffe
	s_cvt_u32_f32 s4, s4
	s_wait_kmcnt 0x0
	s_add_co_i32 s6, s19, -1
	s_delay_alu instid0(SALU_CYCLE_1) | instskip(NEXT) | instid1(SALU_CYCLE_1)
	s_mul_i32 s5, s5, s4
	s_mul_hi_u32 s2, s4, s5
	s_abs_i32 s5, s6
	s_add_co_i32 s4, s4, s2
	s_add_nc_u64 s[2:3], s[8:9], s[16:17]
	s_mul_hi_u32 s4, s5, s4
	s_load_b64 s[34:35], s[2:3], 0x0
	s_wait_xcnt 0x0
	s_mul_i32 s2, s4, s42
	s_ashr_i32 s3, s6, 31
	s_sub_co_i32 s2, s5, s2
	s_add_co_i32 s5, s4, 1
	s_sub_co_i32 s6, s2, s42
	s_cmp_ge_u32 s2, s42
	s_cselect_b32 s4, s5, s4
	s_cselect_b32 s2, s6, s2
	s_add_co_i32 s5, s4, 1
	s_cmp_ge_u32 s2, s42
	s_cselect_b32 s2, s5, s4
	s_delay_alu instid0(SALU_CYCLE_1) | instskip(NEXT) | instid1(SALU_CYCLE_1)
	s_xor_b32 s2, s2, s3
	s_sub_co_i32 s3, s2, s3
	s_mov_b32 s2, -1
	s_cmp_lt_i32 s3, 0
	s_cbranch_scc1 .LBB43_36
; %bb.1:
	s_add_nc_u64 s[0:1], s[38:39], s[0:1]
	v_dual_mov_b32 v2, 0 :: v_dual_mov_b32 v30, v0
	s_load_b32 s44, s[0:1], 0x0
	s_wait_xcnt 0x0
	s_lshl_b32 s0, s33, 1
	s_mul_i32 s1, s33, 3
	v_dual_mov_b32 v7, v2 :: v_dual_mov_b32 v8, v2
	v_dual_mov_b32 v9, v2 :: v_dual_mov_b32 v14, v2
	;; [unrolled: 1-line block ×4, first 2 shown]
	s_delay_alu instid0(VALU_DEP_3) | instskip(NEXT) | instid1(VALU_DEP_2)
	v_mov_b64_e32 v[10:11], v[8:9]
	v_mov_b64_e32 v[8:9], v[6:7]
	s_delay_alu instid0(VALU_DEP_3)
	v_mov_b64_e32 v[6:7], v[4:5]
	v_mov_b64_e32 v[4:5], v[2:3]
	s_add_co_i32 s45, s11, s0
	s_add_co_i32 s46, s11, s1
	s_lshl_b32 s0, s33, 2
	s_mul_i32 s1, s33, 5
	v_dual_mov_b32 v15, v2 :: v_dual_mov_b32 v16, v2
	v_dual_mov_b32 v17, v2 :: v_dual_mov_b32 v18, v2
	;; [unrolled: 1-line block ×9, first 2 shown]
	s_add_co_i32 s47, s11, s0
	s_add_co_i32 s48, s11, s1
	s_mul_i32 s0, s33, 6
	s_mul_i32 s1, s33, 7
	s_add_co_i32 s43, s3, 1
	s_add_co_i32 s49, s11, s0
	;; [unrolled: 1-line block ×4, first 2 shown]
	s_branch .LBB43_3
.LBB43_2:                               ;   in Loop: Header=BB43_3 Depth=1
	s_or_b32 exec_lo, exec_lo, s4
	v_add_nc_u32_e32 v30, s42, v30
	s_add_co_i32 s43, s43, -1
	s_delay_alu instid0(SALU_CYCLE_1)
	s_cmp_eq_u32 s43, 0
	s_cbranch_scc1 .LBB43_35
.LBB43_3:                               ; =>This Inner Loop Header: Depth=1
	s_delay_alu instid0(VALU_DEP_1)
	v_cmp_gt_i32_e64 s6, s19, v30
	v_add_nc_u32_e32 v39, s11, v30
	s_and_saveexec_b32 s0, s6
	s_cbranch_execz .LBB43_5
; %bb.4:                                ;   in Loop: Header=BB43_3 Depth=1
	global_load_b64 v[14:15], v39, s[36:37] scale_offset
	s_wait_loadcnt 0x1
	global_load_b32 v4, v39, s[38:39] scale_offset
	s_wait_loadcnt 0x1
	v_mul_f64_e32 v[14:15], s[40:41], v[14:15]
.LBB43_5:                               ;   in Loop: Header=BB43_3 Depth=1
	s_wait_xcnt 0x0
	s_or_b32 exec_lo, exec_lo, s0
	v_dual_add_nc_u32 v3, s33, v30 :: v_dual_add_nc_u32 v38, s51, v30
	s_delay_alu instid0(VALU_DEP_1)
	v_cmp_gt_i32_e64 s5, s19, v3
	s_and_saveexec_b32 s0, s5
	s_cbranch_execz .LBB43_7
; %bb.6:                                ;   in Loop: Header=BB43_3 Depth=1
	global_load_b64 v[16:17], v38, s[36:37] scale_offset
	s_wait_loadcnt 0x1
	global_load_b32 v5, v38, s[38:39] scale_offset
	s_wait_loadcnt 0x1
	v_mul_f64_e32 v[16:17], s[40:41], v[16:17]
.LBB43_7:                               ;   in Loop: Header=BB43_3 Depth=1
	s_wait_xcnt 0x0
	s_or_b32 exec_lo, exec_lo, s0
	v_dual_add_nc_u32 v3, s33, v3 :: v_dual_add_nc_u32 v37, s45, v30
	s_delay_alu instid0(VALU_DEP_1)
	v_cmp_gt_i32_e64 s4, s19, v3
	;; [unrolled: 14-line block ×3, first 2 shown]
	s_and_saveexec_b32 s0, s3
	s_cbranch_execz .LBB43_11
; %bb.10:                               ;   in Loop: Header=BB43_3 Depth=1
	global_load_b64 v[20:21], v36, s[36:37] scale_offset
	s_wait_loadcnt 0x1
	global_load_b32 v7, v36, s[38:39] scale_offset
	s_wait_loadcnt 0x1
	v_mul_f64_e32 v[20:21], s[40:41], v[20:21]
.LBB43_11:                              ;   in Loop: Header=BB43_3 Depth=1
	s_wait_xcnt 0x0
	s_or_b32 exec_lo, exec_lo, s0
	v_dual_add_nc_u32 v3, s33, v3 :: v_dual_add_nc_u32 v35, s47, v30
	s_delay_alu instid0(VALU_DEP_1)
	v_cmp_gt_i32_e64 s2, s19, v3
	s_and_saveexec_b32 s0, s2
	s_cbranch_execz .LBB43_13
; %bb.12:                               ;   in Loop: Header=BB43_3 Depth=1
	global_load_b64 v[22:23], v35, s[36:37] scale_offset
	s_wait_loadcnt 0x1
	global_load_b32 v8, v35, s[38:39] scale_offset
	s_wait_loadcnt 0x1
	v_mul_f64_e32 v[22:23], s[40:41], v[22:23]
.LBB43_13:                              ;   in Loop: Header=BB43_3 Depth=1
	s_wait_xcnt 0x0
	s_or_b32 exec_lo, exec_lo, s0
	v_dual_add_nc_u32 v3, s33, v3 :: v_dual_add_nc_u32 v34, s48, v30
	s_delay_alu instid0(VALU_DEP_1)
	v_cmp_gt_i32_e64 s1, s19, v3
	;; [unrolled: 14-line block ×3, first 2 shown]
	s_and_saveexec_b32 s7, s0
	s_cbranch_execz .LBB43_17
; %bb.16:                               ;   in Loop: Header=BB43_3 Depth=1
	global_load_b64 v[26:27], v33, s[36:37] scale_offset
	s_wait_loadcnt 0x1
	global_load_b32 v10, v33, s[38:39] scale_offset
	s_wait_loadcnt 0x1
	v_mul_f64_e32 v[26:27], s[40:41], v[26:27]
.LBB43_17:                              ;   in Loop: Header=BB43_3 Depth=1
	s_wait_xcnt 0x0
	s_or_b32 exec_lo, exec_lo, s7
	v_add_nc_u32_e32 v3, s33, v3
	s_delay_alu instid0(VALU_DEP_1)
	v_cmp_gt_i32_e32 vcc_lo, s19, v3
	v_add_nc_u32_e32 v3, s50, v30
	s_and_saveexec_b32 s7, vcc_lo
	s_cbranch_execnz .LBB43_26
; %bb.18:                               ;   in Loop: Header=BB43_3 Depth=1
	s_or_b32 exec_lo, exec_lo, s7
	s_and_saveexec_b32 s52, s6
	s_cbranch_execnz .LBB43_27
.LBB43_19:                              ;   in Loop: Header=BB43_3 Depth=1
	s_or_b32 exec_lo, exec_lo, s52
	s_and_saveexec_b32 s10, s5
	s_cbranch_execnz .LBB43_28
.LBB43_20:                              ;   in Loop: Header=BB43_3 Depth=1
	s_or_b32 exec_lo, exec_lo, s10
	s_and_saveexec_b32 s9, s4
	s_cbranch_execnz .LBB43_29
.LBB43_21:                              ;   in Loop: Header=BB43_3 Depth=1
	s_or_b32 exec_lo, exec_lo, s9
	s_and_saveexec_b32 s8, s3
	s_cbranch_execnz .LBB43_30
.LBB43_22:                              ;   in Loop: Header=BB43_3 Depth=1
	s_or_b32 exec_lo, exec_lo, s8
	s_and_saveexec_b32 s7, s2
	s_cbranch_execnz .LBB43_31
.LBB43_23:                              ;   in Loop: Header=BB43_3 Depth=1
	s_or_b32 exec_lo, exec_lo, s7
	s_and_saveexec_b32 s6, s1
	s_cbranch_execnz .LBB43_32
.LBB43_24:                              ;   in Loop: Header=BB43_3 Depth=1
	s_or_b32 exec_lo, exec_lo, s6
	s_and_saveexec_b32 s5, s0
	s_cbranch_execnz .LBB43_33
.LBB43_25:                              ;   in Loop: Header=BB43_3 Depth=1
	s_or_b32 exec_lo, exec_lo, s5
	s_and_saveexec_b32 s4, vcc_lo
	s_cbranch_execz .LBB43_2
	s_branch .LBB43_34
.LBB43_26:                              ;   in Loop: Header=BB43_3 Depth=1
	global_load_b64 v[28:29], v3, s[36:37] scale_offset
	s_wait_loadcnt 0x1
	global_load_b32 v11, v3, s[38:39] scale_offset
	s_wait_loadcnt 0x1
	v_mul_f64_e32 v[28:29], s[40:41], v[28:29]
	s_wait_xcnt 0x0
	s_or_b32 exec_lo, exec_lo, s7
	s_and_saveexec_b32 s52, s6
	s_cbranch_execz .LBB43_19
.LBB43_27:                              ;   in Loop: Header=BB43_3 Depth=1
	v_cmp_u_f64_e64 s8, v[14:15], v[14:15]
	v_cmp_lt_f64_e64 s6, v[14:15], v[12:13]
	v_cmp_eq_f64_e64 s7, v[14:15], v[12:13]
	s_wait_loadcnt 0x0
	v_cmp_lt_i32_e64 s10, 0, v4
	s_wait_kmcnt 0x0
	v_cmp_eq_u32_e64 s9, s44, v4
	s_delay_alu instid0(VALU_DEP_2)
	v_add_co_ci_u32_e64 v1, null, 0, v1, s10
	v_cmp_gt_i32_e64 s10, s18, v39
	v_add_co_ci_u32_e64 v2, null, 0, v2, s8
	v_cmp_lt_i32_e64 s8, s44, v4
	s_and_b32 s6, s9, s6
	s_and_b32 s7, s9, s7
	s_or_b32 s6, s8, s6
	s_delay_alu instid0(SALU_CYCLE_1) | instskip(SKIP_1) | instid1(SALU_CYCLE_1)
	v_add_co_ci_u32_e64 v31, null, 0, v31, s6
	s_and_b32 s6, s7, s10
	v_add_co_ci_u32_e64 v32, null, 0, v32, s6
	s_or_b32 exec_lo, exec_lo, s52
	s_and_saveexec_b32 s10, s5
	s_cbranch_execz .LBB43_20
.LBB43_28:                              ;   in Loop: Header=BB43_3 Depth=1
	v_cmp_u_f64_e64 s7, v[16:17], v[16:17]
	v_cmp_lt_f64_e64 s5, v[16:17], v[12:13]
	v_cmp_eq_f64_e64 s6, v[16:17], v[12:13]
	s_wait_loadcnt 0x0
	v_cmp_lt_i32_e64 s9, 0, v5
	s_wait_kmcnt 0x0
	v_cmp_eq_u32_e64 s8, s44, v5
	s_delay_alu instid0(VALU_DEP_2)
	v_add_co_ci_u32_e64 v1, null, 0, v1, s9
	v_cmp_gt_i32_e64 s9, s18, v38
	v_add_co_ci_u32_e64 v2, null, 0, v2, s7
	v_cmp_lt_i32_e64 s7, s44, v5
	s_and_b32 s5, s8, s5
	s_and_b32 s6, s8, s6
	s_or_b32 s5, s7, s5
	s_delay_alu instid0(SALU_CYCLE_1) | instskip(SKIP_1) | instid1(SALU_CYCLE_1)
	v_add_co_ci_u32_e64 v31, null, 0, v31, s5
	s_and_b32 s5, s6, s9
	v_add_co_ci_u32_e64 v32, null, 0, v32, s5
	s_or_b32 exec_lo, exec_lo, s10
	s_and_saveexec_b32 s9, s4
	s_cbranch_execz .LBB43_21
.LBB43_29:                              ;   in Loop: Header=BB43_3 Depth=1
	v_cmp_u_f64_e64 s6, v[18:19], v[18:19]
	v_cmp_lt_f64_e64 s4, v[18:19], v[12:13]
	v_cmp_eq_f64_e64 s5, v[18:19], v[12:13]
	s_wait_loadcnt 0x0
	v_cmp_lt_i32_e64 s8, 0, v6
	s_wait_kmcnt 0x0
	v_cmp_eq_u32_e64 s7, s44, v6
	s_delay_alu instid0(VALU_DEP_2)
	v_add_co_ci_u32_e64 v1, null, 0, v1, s8
	v_cmp_gt_i32_e64 s8, s18, v37
	v_add_co_ci_u32_e64 v2, null, 0, v2, s6
	v_cmp_lt_i32_e64 s6, s44, v6
	s_and_b32 s4, s7, s4
	s_and_b32 s5, s7, s5
	s_or_b32 s4, s6, s4
	s_delay_alu instid0(SALU_CYCLE_1) | instskip(SKIP_1) | instid1(SALU_CYCLE_1)
	v_add_co_ci_u32_e64 v31, null, 0, v31, s4
	s_and_b32 s4, s5, s8
	v_add_co_ci_u32_e64 v32, null, 0, v32, s4
	s_or_b32 exec_lo, exec_lo, s9
	s_and_saveexec_b32 s8, s3
	s_cbranch_execz .LBB43_22
.LBB43_30:                              ;   in Loop: Header=BB43_3 Depth=1
	v_cmp_u_f64_e64 s5, v[20:21], v[20:21]
	v_cmp_lt_f64_e64 s3, v[20:21], v[12:13]
	v_cmp_eq_f64_e64 s4, v[20:21], v[12:13]
	s_wait_loadcnt 0x0
	v_cmp_lt_i32_e64 s7, 0, v7
	s_wait_kmcnt 0x0
	v_cmp_eq_u32_e64 s6, s44, v7
	s_delay_alu instid0(VALU_DEP_2)
	v_add_co_ci_u32_e64 v1, null, 0, v1, s7
	v_cmp_gt_i32_e64 s7, s18, v36
	v_add_co_ci_u32_e64 v2, null, 0, v2, s5
	v_cmp_lt_i32_e64 s5, s44, v7
	s_and_b32 s3, s6, s3
	s_and_b32 s4, s6, s4
	s_or_b32 s3, s5, s3
	s_delay_alu instid0(SALU_CYCLE_1) | instskip(SKIP_1) | instid1(SALU_CYCLE_1)
	v_add_co_ci_u32_e64 v31, null, 0, v31, s3
	s_and_b32 s3, s4, s7
	v_add_co_ci_u32_e64 v32, null, 0, v32, s3
	s_or_b32 exec_lo, exec_lo, s8
	s_and_saveexec_b32 s7, s2
	s_cbranch_execz .LBB43_23
.LBB43_31:                              ;   in Loop: Header=BB43_3 Depth=1
	v_cmp_u_f64_e64 s4, v[22:23], v[22:23]
	v_cmp_lt_f64_e64 s2, v[22:23], v[12:13]
	v_cmp_eq_f64_e64 s3, v[22:23], v[12:13]
	s_wait_loadcnt 0x0
	v_cmp_lt_i32_e64 s6, 0, v8
	s_wait_kmcnt 0x0
	v_cmp_eq_u32_e64 s5, s44, v8
	s_delay_alu instid0(VALU_DEP_2)
	v_add_co_ci_u32_e64 v1, null, 0, v1, s6
	v_cmp_gt_i32_e64 s6, s18, v35
	v_add_co_ci_u32_e64 v2, null, 0, v2, s4
	v_cmp_lt_i32_e64 s4, s44, v8
	s_and_b32 s2, s5, s2
	s_and_b32 s3, s5, s3
	s_or_b32 s2, s4, s2
	s_delay_alu instid0(SALU_CYCLE_1) | instskip(SKIP_1) | instid1(SALU_CYCLE_1)
	v_add_co_ci_u32_e64 v31, null, 0, v31, s2
	s_and_b32 s2, s3, s6
	v_add_co_ci_u32_e64 v32, null, 0, v32, s2
	s_or_b32 exec_lo, exec_lo, s7
	s_and_saveexec_b32 s6, s1
	s_cbranch_execz .LBB43_24
.LBB43_32:                              ;   in Loop: Header=BB43_3 Depth=1
	v_cmp_u_f64_e64 s3, v[24:25], v[24:25]
	v_cmp_lt_f64_e64 s1, v[24:25], v[12:13]
	v_cmp_eq_f64_e64 s2, v[24:25], v[12:13]
	s_wait_loadcnt 0x0
	v_cmp_lt_i32_e64 s5, 0, v9
	s_wait_kmcnt 0x0
	v_cmp_eq_u32_e64 s4, s44, v9
	s_delay_alu instid0(VALU_DEP_2)
	v_add_co_ci_u32_e64 v1, null, 0, v1, s5
	v_cmp_gt_i32_e64 s5, s18, v34
	v_add_co_ci_u32_e64 v2, null, 0, v2, s3
	v_cmp_lt_i32_e64 s3, s44, v9
	s_and_b32 s1, s4, s1
	s_and_b32 s2, s4, s2
	s_or_b32 s1, s3, s1
	s_delay_alu instid0(SALU_CYCLE_1) | instskip(SKIP_1) | instid1(SALU_CYCLE_1)
	v_add_co_ci_u32_e64 v31, null, 0, v31, s1
	s_and_b32 s1, s2, s5
	v_add_co_ci_u32_e64 v32, null, 0, v32, s1
	s_or_b32 exec_lo, exec_lo, s6
	s_and_saveexec_b32 s5, s0
	s_cbranch_execz .LBB43_25
.LBB43_33:                              ;   in Loop: Header=BB43_3 Depth=1
	s_delay_alu instid0(VALU_DEP_4)
	v_cmp_u_f64_e64 s2, v[26:27], v[26:27]
	v_cmp_lt_f64_e64 s0, v[26:27], v[12:13]
	v_cmp_eq_f64_e64 s1, v[26:27], v[12:13]
	s_wait_loadcnt 0x0
	v_cmp_lt_i32_e64 s4, 0, v10
	s_wait_kmcnt 0x0
	v_cmp_eq_u32_e64 s3, s44, v10
	s_delay_alu instid0(VALU_DEP_2)
	v_add_co_ci_u32_e64 v1, null, 0, v1, s4
	v_cmp_gt_i32_e64 s4, s18, v33
	v_add_co_ci_u32_e64 v2, null, 0, v2, s2
	v_cmp_lt_i32_e64 s2, s44, v10
	s_and_b32 s0, s3, s0
	s_and_b32 s1, s3, s1
	s_or_b32 s0, s2, s0
	s_delay_alu instid0(SALU_CYCLE_1) | instskip(SKIP_1) | instid1(SALU_CYCLE_1)
	v_add_co_ci_u32_e64 v31, null, 0, v31, s0
	s_and_b32 s0, s1, s4
	v_add_co_ci_u32_e64 v32, null, 0, v32, s0
	s_or_b32 exec_lo, exec_lo, s5
	s_and_saveexec_b32 s4, vcc_lo
	s_cbranch_execz .LBB43_2
.LBB43_34:                              ;   in Loop: Header=BB43_3 Depth=1
	s_delay_alu instid0(VALU_DEP_1)
	v_cmp_u_f64_e64 s1, v[28:29], v[28:29]
	v_cmp_lt_f64_e32 vcc_lo, v[28:29], v[12:13]
	v_cmp_eq_f64_e64 s0, v[28:29], v[12:13]
	s_wait_loadcnt 0x0
	v_cmp_lt_i32_e64 s3, 0, v11
	s_wait_kmcnt 0x0
	v_cmp_eq_u32_e64 s2, s44, v11
	s_delay_alu instid0(VALU_DEP_2)
	v_add_co_ci_u32_e64 v1, null, 0, v1, s3
	v_cmp_gt_i32_e64 s3, s18, v3
	v_add_co_ci_u32_e64 v2, null, 0, v2, s1
	v_cmp_lt_i32_e64 s1, s44, v11
	s_and_b32 s5, s2, vcc_lo
	s_and_b32 s0, s2, s0
	s_or_b32 vcc_lo, s1, s5
	s_delay_alu instid0(SALU_CYCLE_1) | instskip(SKIP_1) | instid1(SALU_CYCLE_1)
	v_add_co_ci_u32_e64 v31, null, 0, v31, vcc_lo
	s_and_b32 vcc_lo, s0, s3
	v_add_co_ci_u32_e64 v32, null, 0, v32, vcc_lo
	s_branch .LBB43_2
.LBB43_35:
	v_add_nc_u32_e32 v3, v31, v32
	v_cmp_eq_u32_e64 s2, 0, v2
.LBB43_36:
	v_lshlrev_b32_e32 v2, 2, v0
	s_cmp_lt_u32 s33, 2
	ds_store_2addr_stride64_b32 v2, v1, v3 offset1:8
	s_wait_loadcnt_dscnt 0x0
	s_barrier_signal -1
	s_barrier_wait -1
	s_cbranch_scc1 .LBB43_41
; %bb.37:
	v_or_b32_e32 v4, 0x800, v2
	s_lshr_b32 s0, s33, 1
	s_mov_b32 s1, exec_lo
	v_cmpx_gt_u32_e64 s0, v0
	s_cbranch_execz .LBB43_39
.LBB43_38:
	s_lshl_b32 s3, s0, 2
	s_delay_alu instid0(SALU_CYCLE_1)
	v_dual_add_nc_u32 v5, s3, v4 :: v_dual_add_nc_u32 v6, s3, v2
	ds_load_b32 v5, v5
	ds_load_b32 v6, v6
	s_wait_dscnt 0x0
	v_dual_add_nc_u32 v3, v5, v3 :: v_dual_add_nc_u32 v1, v6, v1
	ds_store_b32 v4, v3
	ds_store_b32 v2, v1
.LBB43_39:                              ; =>This Inner Loop Header: Depth=1
	s_or_b32 exec_lo, exec_lo, s1
	s_cmp_gt_u32 s33, 3
	s_wait_dscnt 0x0
	s_barrier_signal -1
	s_barrier_wait -1
	s_cbranch_scc0 .LBB43_41
; %bb.40:                               ;   in Loop: Header=BB43_39 Depth=1
	s_mov_b32 s33, s0
	s_delay_alu instid0(SALU_CYCLE_1)
	s_lshr_b32 s0, s33, 1
	s_mov_b32 s1, exec_lo
	v_cmpx_gt_u32_e64 s0, v0
	s_cbranch_execnz .LBB43_38
	s_branch .LBB43_39
.LBB43_41:
	s_xor_b32 s0, s2, -1
	s_mov_b32 s1, exec_lo
	v_cmpx_eq_u32_e32 0, v0
	s_cbranch_execz .LBB43_43
; %bb.42:
	v_dual_add_nc_u32 v0, s11, v3 :: v_dual_mov_b32 v6, s18
	s_lshl_b64 s[2:3], s[12:13], 6
	s_wait_kmcnt 0x0
	v_mov_b64_e32 v[2:3], s[34:35]
	v_mov_b64_e32 v[4:5], s[26:27]
	s_add_nc_u64 s[4:5], s[30:31], s[24:25]
	s_sub_nc_u64 s[2:3], 0, s[2:3]
	s_delay_alu instid0(SALU_CYCLE_1)
	s_add_nc_u64 s[2:3], s[22:23], s[2:3]
	s_clause 0x4
	global_store_b32 v0, v1, s[4:5] scale_offset
	global_store_b32 v0, v6, s[28:29] scale_offset
	global_store_b64 v0, v[12:13], s[14:15] scale_offset
	global_store_b64 v0, v[2:3], s[20:21] scale_offset
	;; [unrolled: 1-line block ×3, first 2 shown]
.LBB43_43:
	s_wait_xcnt 0x0
	s_or_b32 exec_lo, exec_lo, s1
	s_wait_storecnt 0x0
	s_barrier_signal -1
	s_barrier_wait -1
	s_and_saveexec_b32 s1, s0
	s_cbranch_execz .LBB43_45
; %bb.44:
	v_mov_b64_e32 v[0:1], 0x7ff8000000000000
	v_mov_b32_e32 v2, 0
	s_add_nc_u64 s[0:1], s[14:15], s[16:17]
	global_store_b64 v2, v[0:1], s[0:1]
.LBB43_45:
	s_endpgm
	.section	.rodata,"a",@progbits
	.p2align	6, 0x0
	.amdhsa_kernel _ZN9rocsolver6v33100L31stedc_mergeValues_SortDZ_kernelIdEEviiPT_lS3_Pi
		.amdhsa_group_segment_fixed_size 4096
		.amdhsa_private_segment_fixed_size 0
		.amdhsa_kernarg_size 296
		.amdhsa_user_sgpr_count 2
		.amdhsa_user_sgpr_dispatch_ptr 0
		.amdhsa_user_sgpr_queue_ptr 0
		.amdhsa_user_sgpr_kernarg_segment_ptr 1
		.amdhsa_user_sgpr_dispatch_id 0
		.amdhsa_user_sgpr_kernarg_preload_length 0
		.amdhsa_user_sgpr_kernarg_preload_offset 0
		.amdhsa_user_sgpr_private_segment_size 0
		.amdhsa_wavefront_size32 1
		.amdhsa_uses_dynamic_stack 0
		.amdhsa_enable_private_segment 0
		.amdhsa_system_sgpr_workgroup_id_x 1
		.amdhsa_system_sgpr_workgroup_id_y 1
		.amdhsa_system_sgpr_workgroup_id_z 0
		.amdhsa_system_sgpr_workgroup_info 0
		.amdhsa_system_vgpr_workitem_id 0
		.amdhsa_next_free_vgpr 40
		.amdhsa_next_free_sgpr 53
		.amdhsa_named_barrier_count 0
		.amdhsa_reserve_vcc 1
		.amdhsa_float_round_mode_32 0
		.amdhsa_float_round_mode_16_64 0
		.amdhsa_float_denorm_mode_32 3
		.amdhsa_float_denorm_mode_16_64 3
		.amdhsa_fp16_overflow 0
		.amdhsa_memory_ordered 1
		.amdhsa_forward_progress 1
		.amdhsa_inst_pref_size 23
		.amdhsa_round_robin_scheduling 0
		.amdhsa_exception_fp_ieee_invalid_op 0
		.amdhsa_exception_fp_denorm_src 0
		.amdhsa_exception_fp_ieee_div_zero 0
		.amdhsa_exception_fp_ieee_overflow 0
		.amdhsa_exception_fp_ieee_underflow 0
		.amdhsa_exception_fp_ieee_inexact 0
		.amdhsa_exception_int_div_zero 0
	.end_amdhsa_kernel
	.section	.text._ZN9rocsolver6v33100L31stedc_mergeValues_SortDZ_kernelIdEEviiPT_lS3_Pi,"axG",@progbits,_ZN9rocsolver6v33100L31stedc_mergeValues_SortDZ_kernelIdEEviiPT_lS3_Pi,comdat
.Lfunc_end43:
	.size	_ZN9rocsolver6v33100L31stedc_mergeValues_SortDZ_kernelIdEEviiPT_lS3_Pi, .Lfunc_end43-_ZN9rocsolver6v33100L31stedc_mergeValues_SortDZ_kernelIdEEviiPT_lS3_Pi
                                        ; -- End function
	.set _ZN9rocsolver6v33100L31stedc_mergeValues_SortDZ_kernelIdEEviiPT_lS3_Pi.num_vgpr, 40
	.set _ZN9rocsolver6v33100L31stedc_mergeValues_SortDZ_kernelIdEEviiPT_lS3_Pi.num_agpr, 0
	.set _ZN9rocsolver6v33100L31stedc_mergeValues_SortDZ_kernelIdEEviiPT_lS3_Pi.numbered_sgpr, 53
	.set _ZN9rocsolver6v33100L31stedc_mergeValues_SortDZ_kernelIdEEviiPT_lS3_Pi.num_named_barrier, 0
	.set _ZN9rocsolver6v33100L31stedc_mergeValues_SortDZ_kernelIdEEviiPT_lS3_Pi.private_seg_size, 0
	.set _ZN9rocsolver6v33100L31stedc_mergeValues_SortDZ_kernelIdEEviiPT_lS3_Pi.uses_vcc, 1
	.set _ZN9rocsolver6v33100L31stedc_mergeValues_SortDZ_kernelIdEEviiPT_lS3_Pi.uses_flat_scratch, 0
	.set _ZN9rocsolver6v33100L31stedc_mergeValues_SortDZ_kernelIdEEviiPT_lS3_Pi.has_dyn_sized_stack, 0
	.set _ZN9rocsolver6v33100L31stedc_mergeValues_SortDZ_kernelIdEEviiPT_lS3_Pi.has_recursion, 0
	.set _ZN9rocsolver6v33100L31stedc_mergeValues_SortDZ_kernelIdEEviiPT_lS3_Pi.has_indirect_call, 0
	.section	.AMDGPU.csdata,"",@progbits
; Kernel info:
; codeLenInByte = 2888
; TotalNumSgprs: 55
; NumVgprs: 40
; ScratchSize: 0
; MemoryBound: 0
; FloatMode: 240
; IeeeMode: 1
; LDSByteSize: 4096 bytes/workgroup (compile time only)
; SGPRBlocks: 0
; VGPRBlocks: 2
; NumSGPRsForWavesPerEU: 55
; NumVGPRsForWavesPerEU: 40
; NamedBarCnt: 0
; Occupancy: 16
; WaveLimiterHint : 1
; COMPUTE_PGM_RSRC2:SCRATCH_EN: 0
; COMPUTE_PGM_RSRC2:USER_SGPR: 2
; COMPUTE_PGM_RSRC2:TRAP_HANDLER: 0
; COMPUTE_PGM_RSRC2:TGID_X_EN: 1
; COMPUTE_PGM_RSRC2:TGID_Y_EN: 1
; COMPUTE_PGM_RSRC2:TGID_Z_EN: 0
; COMPUTE_PGM_RSRC2:TIDIG_COMP_CNT: 0
	.section	.text._ZN9rocsolver6v33100L30stedc_mergeValues_copyD_kernelIdEEviiPT_lS3_S3_Pi,"axG",@progbits,_ZN9rocsolver6v33100L30stedc_mergeValues_copyD_kernelIdEEviiPT_lS3_S3_Pi,comdat
	.globl	_ZN9rocsolver6v33100L30stedc_mergeValues_copyD_kernelIdEEviiPT_lS3_S3_Pi ; -- Begin function _ZN9rocsolver6v33100L30stedc_mergeValues_copyD_kernelIdEEviiPT_lS3_S3_Pi
	.p2align	8
	.type	_ZN9rocsolver6v33100L30stedc_mergeValues_copyD_kernelIdEEviiPT_lS3_S3_Pi,@function
_ZN9rocsolver6v33100L30stedc_mergeValues_copyD_kernelIdEEviiPT_lS3_S3_Pi: ; @_ZN9rocsolver6v33100L30stedc_mergeValues_copyD_kernelIdEEviiPT_lS3_S3_Pi
; %bb.0:
	s_clause 0x2
	s_load_b32 s2, s[0:1], 0x4
	s_load_b256 s[4:11], s[0:1], 0x8
	s_load_b64 s[14:15], s[0:1], 0x28
	s_bfe_u32 s12, ttmp6, 0x4000c
	s_bfe_u32 s13, ttmp6, 0x40010
	s_add_co_i32 s12, s12, 1
	s_add_co_i32 s13, s13, 1
	s_and_b32 s3, ttmp6, 15
	s_bfe_u32 s16, ttmp6, 0x40004
	s_mul_i32 s12, ttmp9, s12
	s_mul_i32 s13, ttmp7, s13
	s_getreg_b32 s17, hwreg(HW_REG_IB_STS2, 6, 4)
	s_add_co_i32 s3, s3, s12
	s_add_co_i32 s16, s16, s13
	s_cmp_eq_u32 s17, 0
	s_load_b32 s13, s[0:1], 0x3c
	s_cselect_b32 s12, ttmp7, s16
	s_wait_xcnt 0x0
	s_cselect_b32 s0, ttmp9, s3
	s_mov_b32 s17, exec_lo
	s_ashr_i32 s1, s0, 31
	s_wait_kmcnt 0x0
	s_mul_i32 s16, s2, s12
	s_mul_i32 s18, s2, 7
	;; [unrolled: 1-line block ×3, first 2 shown]
	s_ashr_i32 s3, s2, 31
	s_ashr_i32 s21, s20, 31
	;; [unrolled: 1-line block ×3, first 2 shown]
	s_lshl_b64 s[20:21], s[20:21], 2
	s_lshl_b64 s[22:23], s[18:19], 2
	s_add_nc_u64 s[14:15], s[14:15], s[20:21]
	s_lshl_b64 s[20:21], s[2:3], 2
	s_add_nc_u64 s[14:15], s[14:15], s[22:23]
	s_sub_nc_u64 s[20:21], 0, s[20:21]
	s_lshl_b64 s[22:23], s[0:1], 2
	s_add_nc_u64 s[20:21], s[14:15], s[20:21]
	s_add_nc_u64 s[24:25], s[14:15], s[22:23]
	;; [unrolled: 1-line block ×3, first 2 shown]
	s_clause 0x1
	s_load_b32 s1, s[24:25], 0x0
	s_load_b32 s14, s[20:21], 0x0
	s_and_b32 s15, s13, 0xffff
	s_wait_xcnt 0x0
	s_mul_i32 s20, s16, 10
	v_mad_u32 v1, s0, s15, v0
	s_ashr_i32 s21, s20, 31
	s_lshl_b64 s[18:19], s[18:19], 3
	s_lshl_b64 s[20:21], s[20:21], 3
	s_delay_alu instid0(SALU_CYCLE_1) | instskip(NEXT) | instid1(SALU_CYCLE_1)
	s_add_nc_u64 s[8:9], s[8:9], s[20:21]
	s_add_nc_u64 s[8:9], s[8:9], s[18:19]
	s_delay_alu instid0(VALU_DEP_1)
	v_cmpx_gt_i32_e64 s2, v1
	s_cbranch_execz .LBB44_2
; %bb.1:
	s_mov_b64 s[18:19], 0xffffffffffffffd0
	s_ashr_i32 s13, s12, 31
	s_mul_u64 s[18:19], s[2:3], s[18:19]
	s_mul_u64 s[6:7], s[6:7], s[12:13]
	s_add_nc_u64 s[18:19], s[8:9], s[18:19]
	s_lshl_b64 s[6:7], s[6:7], 3
	global_load_b64 v[2:3], v1, s[18:19] scale_offset
	s_add_nc_u64 s[4:5], s[4:5], s[6:7]
	s_wait_loadcnt 0x0
	global_store_b64 v1, v[2:3], s[4:5] scale_offset
.LBB44_2:
	s_wait_xcnt 0x0
	s_or_b32 exec_lo, exec_lo, s17
	s_delay_alu instid0(SALU_CYCLE_1)
	s_mov_b32 s3, exec_lo
	s_wait_kmcnt 0x0
	v_cmpx_gt_i32_e64 s1, v0
	s_cbranch_execz .LBB44_5
; %bb.3:
	s_mul_i32 s16, s16, s2
	s_mul_i32 s4, s2, s2
	s_lshl_b32 s6, s16, 1
	s_mov_b32 s5, 0
	s_ashr_i32 s7, s6, 31
	s_lshl_b64 s[12:13], s[4:5], 3
	s_lshl_b64 s[6:7], s[6:7], 3
	s_mul_i32 s0, s2, s0
	s_add_nc_u64 s[6:7], s[10:11], s[6:7]
	s_delay_alu instid0(SALU_CYCLE_1)
	s_add_nc_u64 s[6:7], s[6:7], s[12:13]
.LBB44_4:                               ; =>This Inner Loop Header: Depth=1
	v_add_nc_u32_e32 v1, s14, v0
	global_load_b64 v[2:3], v1, s[8:9] scale_offset
	s_wait_xcnt 0x0
	v_dual_add_nc_u32 v1, s0, v0 :: v_dual_add_nc_u32 v0, s15, v0
	s_delay_alu instid0(VALU_DEP_1)
	v_cmp_le_i32_e32 vcc_lo, s1, v0
	s_or_b32 s5, vcc_lo, s5
	s_wait_loadcnt 0x0
	global_store_b64 v1, v[2:3], s[6:7] scale_offset
	s_wait_xcnt 0x0
	s_and_not1_b32 exec_lo, exec_lo, s5
	s_cbranch_execnz .LBB44_4
.LBB44_5:
	s_endpgm
	.section	.rodata,"a",@progbits
	.p2align	6, 0x0
	.amdhsa_kernel _ZN9rocsolver6v33100L30stedc_mergeValues_copyD_kernelIdEEviiPT_lS3_S3_Pi
		.amdhsa_group_segment_fixed_size 0
		.amdhsa_private_segment_fixed_size 0
		.amdhsa_kernarg_size 304
		.amdhsa_user_sgpr_count 2
		.amdhsa_user_sgpr_dispatch_ptr 0
		.amdhsa_user_sgpr_queue_ptr 0
		.amdhsa_user_sgpr_kernarg_segment_ptr 1
		.amdhsa_user_sgpr_dispatch_id 0
		.amdhsa_user_sgpr_kernarg_preload_length 0
		.amdhsa_user_sgpr_kernarg_preload_offset 0
		.amdhsa_user_sgpr_private_segment_size 0
		.amdhsa_wavefront_size32 1
		.amdhsa_uses_dynamic_stack 0
		.amdhsa_enable_private_segment 0
		.amdhsa_system_sgpr_workgroup_id_x 1
		.amdhsa_system_sgpr_workgroup_id_y 1
		.amdhsa_system_sgpr_workgroup_id_z 0
		.amdhsa_system_sgpr_workgroup_info 0
		.amdhsa_system_vgpr_workitem_id 0
		.amdhsa_next_free_vgpr 4
		.amdhsa_next_free_sgpr 26
		.amdhsa_named_barrier_count 0
		.amdhsa_reserve_vcc 1
		.amdhsa_float_round_mode_32 0
		.amdhsa_float_round_mode_16_64 0
		.amdhsa_float_denorm_mode_32 3
		.amdhsa_float_denorm_mode_16_64 3
		.amdhsa_fp16_overflow 0
		.amdhsa_memory_ordered 1
		.amdhsa_forward_progress 1
		.amdhsa_inst_pref_size 4
		.amdhsa_round_robin_scheduling 0
		.amdhsa_exception_fp_ieee_invalid_op 0
		.amdhsa_exception_fp_denorm_src 0
		.amdhsa_exception_fp_ieee_div_zero 0
		.amdhsa_exception_fp_ieee_overflow 0
		.amdhsa_exception_fp_ieee_underflow 0
		.amdhsa_exception_fp_ieee_inexact 0
		.amdhsa_exception_int_div_zero 0
	.end_amdhsa_kernel
	.section	.text._ZN9rocsolver6v33100L30stedc_mergeValues_copyD_kernelIdEEviiPT_lS3_S3_Pi,"axG",@progbits,_ZN9rocsolver6v33100L30stedc_mergeValues_copyD_kernelIdEEviiPT_lS3_S3_Pi,comdat
.Lfunc_end44:
	.size	_ZN9rocsolver6v33100L30stedc_mergeValues_copyD_kernelIdEEviiPT_lS3_S3_Pi, .Lfunc_end44-_ZN9rocsolver6v33100L30stedc_mergeValues_copyD_kernelIdEEviiPT_lS3_S3_Pi
                                        ; -- End function
	.set _ZN9rocsolver6v33100L30stedc_mergeValues_copyD_kernelIdEEviiPT_lS3_S3_Pi.num_vgpr, 4
	.set _ZN9rocsolver6v33100L30stedc_mergeValues_copyD_kernelIdEEviiPT_lS3_S3_Pi.num_agpr, 0
	.set _ZN9rocsolver6v33100L30stedc_mergeValues_copyD_kernelIdEEviiPT_lS3_S3_Pi.numbered_sgpr, 26
	.set _ZN9rocsolver6v33100L30stedc_mergeValues_copyD_kernelIdEEviiPT_lS3_S3_Pi.num_named_barrier, 0
	.set _ZN9rocsolver6v33100L30stedc_mergeValues_copyD_kernelIdEEviiPT_lS3_S3_Pi.private_seg_size, 0
	.set _ZN9rocsolver6v33100L30stedc_mergeValues_copyD_kernelIdEEviiPT_lS3_S3_Pi.uses_vcc, 1
	.set _ZN9rocsolver6v33100L30stedc_mergeValues_copyD_kernelIdEEviiPT_lS3_S3_Pi.uses_flat_scratch, 0
	.set _ZN9rocsolver6v33100L30stedc_mergeValues_copyD_kernelIdEEviiPT_lS3_S3_Pi.has_dyn_sized_stack, 0
	.set _ZN9rocsolver6v33100L30stedc_mergeValues_copyD_kernelIdEEviiPT_lS3_S3_Pi.has_recursion, 0
	.set _ZN9rocsolver6v33100L30stedc_mergeValues_copyD_kernelIdEEviiPT_lS3_S3_Pi.has_indirect_call, 0
	.section	.AMDGPU.csdata,"",@progbits
; Kernel info:
; codeLenInByte = 480
; TotalNumSgprs: 28
; NumVgprs: 4
; ScratchSize: 0
; MemoryBound: 0
; FloatMode: 240
; IeeeMode: 1
; LDSByteSize: 0 bytes/workgroup (compile time only)
; SGPRBlocks: 0
; VGPRBlocks: 0
; NumSGPRsForWavesPerEU: 28
; NumVGPRsForWavesPerEU: 4
; NamedBarCnt: 0
; Occupancy: 16
; WaveLimiterHint : 1
; COMPUTE_PGM_RSRC2:SCRATCH_EN: 0
; COMPUTE_PGM_RSRC2:USER_SGPR: 2
; COMPUTE_PGM_RSRC2:TRAP_HANDLER: 0
; COMPUTE_PGM_RSRC2:TGID_X_EN: 1
; COMPUTE_PGM_RSRC2:TGID_Y_EN: 1
; COMPUTE_PGM_RSRC2:TGID_Z_EN: 0
; COMPUTE_PGM_RSRC2:TIDIG_COMP_CNT: 0
	.section	.text._ZN9rocsolver6v33100L11stedc_copyCIdPdS2_EEviT0_iilT1_iil,"axG",@progbits,_ZN9rocsolver6v33100L11stedc_copyCIdPdS2_EEviT0_iilT1_iil,comdat
	.globl	_ZN9rocsolver6v33100L11stedc_copyCIdPdS2_EEviT0_iilT1_iil ; -- Begin function _ZN9rocsolver6v33100L11stedc_copyCIdPdS2_EEviT0_iilT1_iil
	.p2align	8
	.type	_ZN9rocsolver6v33100L11stedc_copyCIdPdS2_EEviT0_iilT1_iil,@function
_ZN9rocsolver6v33100L11stedc_copyCIdPdS2_EEviT0_iilT1_iil: ; @_ZN9rocsolver6v33100L11stedc_copyCIdPdS2_EEviT0_iilT1_iil
; %bb.0:
	s_clause 0x1
	s_load_b32 s2, s[0:1], 0x44
	s_load_b32 s22, s[0:1], 0x0
	s_wait_kmcnt 0x0
	s_and_b32 s20, s2, 0xffff
	s_add_co_i32 s4, s22, -1
	s_lshl_b32 s21, s20, 4
	s_abs_i32 s5, s4
	s_cvt_f32_u32 s2, s21
	s_sub_co_i32 s3, 0, s21
	s_ashr_i32 s4, s4, 31
	s_delay_alu instid0(SALU_CYCLE_1) | instskip(SKIP_1) | instid1(TRANS32_DEP_1)
	v_rcp_iflag_f32_e32 v1, s2
	v_nop
	v_readfirstlane_b32 s2, v1
	s_mul_f32 s2, s2, 0x4f7ffffe
	s_delay_alu instid0(SALU_CYCLE_3) | instskip(NEXT) | instid1(SALU_CYCLE_3)
	s_cvt_u32_f32 s2, s2
	s_mul_i32 s3, s3, s2
	s_delay_alu instid0(SALU_CYCLE_1) | instskip(NEXT) | instid1(SALU_CYCLE_1)
	s_mul_hi_u32 s3, s2, s3
	s_add_co_i32 s2, s2, s3
	s_delay_alu instid0(SALU_CYCLE_1) | instskip(NEXT) | instid1(SALU_CYCLE_1)
	s_mul_hi_u32 s2, s5, s2
	s_mul_i32 s3, s2, s21
	s_delay_alu instid0(SALU_CYCLE_1)
	s_sub_co_i32 s3, s5, s3
	s_add_co_i32 s5, s2, 1
	s_sub_co_i32 s6, s3, s21
	s_cmp_ge_u32 s3, s21
	s_cselect_b32 s2, s5, s2
	s_cselect_b32 s3, s6, s3
	s_add_co_i32 s5, s2, 1
	s_cmp_ge_u32 s3, s21
	s_cselect_b32 s2, s5, s2
	s_delay_alu instid0(SALU_CYCLE_1) | instskip(NEXT) | instid1(SALU_CYCLE_1)
	s_xor_b32 s2, s2, s4
	s_sub_co_i32 s2, s2, s4
	s_delay_alu instid0(SALU_CYCLE_1)
	s_cmp_lt_i32 s2, 0
	s_cbranch_scc1 .LBB45_67
; %bb.1:
	s_clause 0x1
	s_load_b256 s[4:11], s[0:1], 0x8
	s_load_b128 s[12:15], s[0:1], 0x28
	s_wait_xcnt 0x0
	s_bfe_u32 s1, ttmp6, 0x4000c
	s_bfe_u32 s3, ttmp6, 0x40010
	s_add_co_i32 s1, s1, 1
	s_add_co_i32 s3, s3, 1
	s_and_b32 s0, ttmp6, 15
	s_bfe_u32 s16, ttmp6, 0x40004
	s_mul_i32 s1, ttmp9, s1
	s_mul_i32 s3, ttmp7, s3
	s_getreg_b32 s17, hwreg(HW_REG_IB_STS2, 6, 4)
	s_add_co_i32 s18, s0, s1
	s_add_co_i32 s3, s16, s3
	v_mov_b32_e32 v2, 0
	s_mul_i32 s24, s20, 3
	s_mul_i32 s26, s20, 5
	;; [unrolled: 1-line block ×4, first 2 shown]
	v_dual_mov_b32 v3, v2 :: v_dual_mov_b32 v4, v2
	s_wait_kmcnt 0x0
	s_ashr_i32 s1, s6, 31
	s_cmp_eq_u32 s17, 0
	s_mov_b32 s0, s6
	s_cselect_b32 s23, ttmp9, s18
	s_cselect_b32 s18, ttmp7, s3
	s_mov_b32 s16, s12
	s_ashr_i32 s19, s18, 31
	s_ashr_i32 s17, s12, 31
	s_mul_u64 s[8:9], s[8:9], s[18:19]
	s_mul_u64 s[14:15], s[14:15], s[18:19]
	s_mul_i32 s6, s7, s23
	s_mul_i32 s12, s13, s23
	s_lshl_b64 s[8:9], s[8:9], 3
	s_lshl_b64 s[14:15], s[14:15], 3
	;; [unrolled: 1-line block ×4, first 2 shown]
	s_ashr_i32 s7, s6, 31
	s_add_nc_u64 s[4:5], s[4:5], s[8:9]
	s_add_nc_u64 s[8:9], s[10:11], s[14:15]
	s_ashr_i32 s13, s12, 31
	v_dual_mov_b32 v5, v2 :: v_dual_mov_b32 v6, v2
	v_dual_mov_b32 v7, v2 :: v_dual_mov_b32 v8, v2
	;; [unrolled: 1-line block ×14, first 2 shown]
	v_mov_b32_e32 v33, v2
	s_add_nc_u64 s[0:1], s[4:5], s[0:1]
	s_add_nc_u64 s[4:5], s[8:9], s[16:17]
	s_lshl_b64 s[6:7], s[6:7], 3
	s_lshl_b64 s[8:9], s[12:13], 3
	s_add_nc_u64 s[16:17], s[0:1], s[6:7]
	s_add_nc_u64 s[18:19], s[4:5], s[8:9]
	s_add_co_i32 s15, s2, 1
	s_lshl_b32 s23, s20, 1
	s_lshl_b32 s25, s20, 2
	;; [unrolled: 1-line block ×3, first 2 shown]
	s_mul_i32 s30, s20, 9
	s_mul_i32 s31, s20, 10
	;; [unrolled: 1-line block ×7, first 2 shown]
	s_branch .LBB45_3
.LBB45_2:                               ;   in Loop: Header=BB45_3 Depth=1
	s_wait_xcnt 0x0
	s_or_b32 exec_lo, exec_lo, s0
	v_add_nc_u32_e32 v0, s21, v0
	s_add_co_i32 s15, s15, -1
	s_delay_alu instid0(SALU_CYCLE_1)
	s_cmp_eq_u32 s15, 0
	s_cbranch_scc1 .LBB45_67
.LBB45_3:                               ; =>This Inner Loop Header: Depth=1
	s_delay_alu instid0(VALU_DEP_1)
	v_cmp_gt_i32_e32 vcc_lo, s22, v0
	s_and_saveexec_b32 s0, vcc_lo
	s_cbranch_execz .LBB45_5
; %bb.4:                                ;   in Loop: Header=BB45_3 Depth=1
	s_wait_loadcnt 0x0
	global_load_b64 v[2:3], v0, s[16:17] scale_offset
.LBB45_5:                               ;   in Loop: Header=BB45_3 Depth=1
	s_wait_xcnt 0x0
	s_or_b32 exec_lo, exec_lo, s0
	v_add_nc_u32_e32 v1, s20, v0
	s_delay_alu instid0(VALU_DEP_1)
	v_cmp_gt_i32_e64 s0, s22, v1
	s_and_saveexec_b32 s1, s0
	s_cbranch_execz .LBB45_7
; %bb.6:                                ;   in Loop: Header=BB45_3 Depth=1
	s_wait_loadcnt 0x0
	global_load_b64 v[4:5], v1, s[16:17] scale_offset
.LBB45_7:                               ;   in Loop: Header=BB45_3 Depth=1
	s_wait_xcnt 0x0
	s_or_b32 exec_lo, exec_lo, s1
	v_dual_add_nc_u32 v35, s20, v1 :: v_dual_add_nc_u32 v34, s23, v0
	s_delay_alu instid0(VALU_DEP_1)
	v_cmp_gt_i32_e64 s1, s22, v35
	s_and_saveexec_b32 s2, s1
	s_cbranch_execz .LBB45_9
; %bb.8:                                ;   in Loop: Header=BB45_3 Depth=1
	s_wait_loadcnt 0x0
	global_load_b64 v[6:7], v34, s[16:17] scale_offset
.LBB45_9:                               ;   in Loop: Header=BB45_3 Depth=1
	s_wait_xcnt 0x0
	s_or_b32 exec_lo, exec_lo, s2
	v_dual_add_nc_u32 v36, s20, v35 :: v_dual_add_nc_u32 v35, s24, v0
	s_delay_alu instid0(VALU_DEP_1)
	v_cmp_gt_i32_e64 s2, s22, v36
	s_and_saveexec_b32 s3, s2
	s_cbranch_execz .LBB45_11
; %bb.10:                               ;   in Loop: Header=BB45_3 Depth=1
	s_wait_loadcnt 0x0
	global_load_b64 v[8:9], v35, s[16:17] scale_offset
.LBB45_11:                              ;   in Loop: Header=BB45_3 Depth=1
	s_wait_xcnt 0x0
	s_or_b32 exec_lo, exec_lo, s3
	v_add_nc_u32_e32 v37, s20, v36
	v_add_nc_u32_e32 v36, s25, v0
	s_delay_alu instid0(VALU_DEP_2)
	v_cmp_gt_i32_e64 s3, s22, v37
	s_and_saveexec_b32 s4, s3
	s_cbranch_execz .LBB45_13
; %bb.12:                               ;   in Loop: Header=BB45_3 Depth=1
	s_wait_loadcnt 0x0
	global_load_b64 v[10:11], v36, s[16:17] scale_offset
.LBB45_13:                              ;   in Loop: Header=BB45_3 Depth=1
	s_wait_xcnt 0x0
	s_or_b32 exec_lo, exec_lo, s4
	v_dual_add_nc_u32 v38, s20, v37 :: v_dual_add_nc_u32 v37, s26, v0
	s_delay_alu instid0(VALU_DEP_1)
	v_cmp_gt_i32_e64 s4, s22, v38
	s_and_saveexec_b32 s5, s4
	s_cbranch_execz .LBB45_15
; %bb.14:                               ;   in Loop: Header=BB45_3 Depth=1
	s_wait_loadcnt 0x0
	global_load_b64 v[12:13], v37, s[16:17] scale_offset
.LBB45_15:                              ;   in Loop: Header=BB45_3 Depth=1
	s_wait_xcnt 0x0
	s_or_b32 exec_lo, exec_lo, s5
	v_dual_add_nc_u32 v39, s20, v38 :: v_dual_add_nc_u32 v38, s27, v0
	s_delay_alu instid0(VALU_DEP_1)
	v_cmp_gt_i32_e64 s5, s22, v39
	s_and_saveexec_b32 s6, s5
	s_cbranch_execz .LBB45_17
; %bb.16:                               ;   in Loop: Header=BB45_3 Depth=1
	s_wait_loadcnt 0x0
	global_load_b64 v[14:15], v38, s[16:17] scale_offset
.LBB45_17:                              ;   in Loop: Header=BB45_3 Depth=1
	s_wait_xcnt 0x0
	s_or_b32 exec_lo, exec_lo, s6
	v_dual_add_nc_u32 v40, s20, v39 :: v_dual_add_nc_u32 v39, s28, v0
	s_delay_alu instid0(VALU_DEP_1)
	v_cmp_gt_i32_e64 s6, s22, v40
	s_and_saveexec_b32 s7, s6
	s_cbranch_execz .LBB45_19
; %bb.18:                               ;   in Loop: Header=BB45_3 Depth=1
	s_wait_loadcnt 0x0
	global_load_b64 v[16:17], v39, s[16:17] scale_offset
.LBB45_19:                              ;   in Loop: Header=BB45_3 Depth=1
	s_wait_xcnt 0x0
	s_or_b32 exec_lo, exec_lo, s7
	v_add_nc_u32_e32 v41, s20, v40
	v_add_nc_u32_e32 v40, s29, v0
	s_delay_alu instid0(VALU_DEP_2)
	v_cmp_gt_i32_e64 s7, s22, v41
	s_and_saveexec_b32 s8, s7
	s_cbranch_execz .LBB45_21
; %bb.20:                               ;   in Loop: Header=BB45_3 Depth=1
	s_wait_loadcnt 0x0
	global_load_b64 v[18:19], v40, s[16:17] scale_offset
.LBB45_21:                              ;   in Loop: Header=BB45_3 Depth=1
	s_wait_xcnt 0x0
	s_or_b32 exec_lo, exec_lo, s8
	v_dual_add_nc_u32 v42, s20, v41 :: v_dual_add_nc_u32 v41, s30, v0
	s_delay_alu instid0(VALU_DEP_1)
	v_cmp_gt_i32_e64 s8, s22, v42
	s_and_saveexec_b32 s9, s8
	s_cbranch_execz .LBB45_23
; %bb.22:                               ;   in Loop: Header=BB45_3 Depth=1
	s_wait_loadcnt 0x0
	global_load_b64 v[20:21], v41, s[16:17] scale_offset
.LBB45_23:                              ;   in Loop: Header=BB45_3 Depth=1
	s_wait_xcnt 0x0
	s_or_b32 exec_lo, exec_lo, s9
	v_dual_add_nc_u32 v43, s20, v42 :: v_dual_add_nc_u32 v42, s31, v0
	s_delay_alu instid0(VALU_DEP_1)
	v_cmp_gt_i32_e64 s9, s22, v43
	s_and_saveexec_b32 s10, s9
	s_cbranch_execz .LBB45_25
; %bb.24:                               ;   in Loop: Header=BB45_3 Depth=1
	s_wait_loadcnt 0x0
	global_load_b64 v[22:23], v42, s[16:17] scale_offset
.LBB45_25:                              ;   in Loop: Header=BB45_3 Depth=1
	;; [unrolled: 45-line block ×3, first 2 shown]
	s_wait_xcnt 0x0
	s_or_b32 exec_lo, exec_lo, s14
	v_dual_add_nc_u32 v48, s20, v47 :: v_dual_add_nc_u32 v47, s37, v0
	s_delay_alu instid0(VALU_DEP_1)
	v_cmp_gt_i32_e64 s14, s22, v48
	s_and_saveexec_b32 s38, s14
	s_cbranch_execnz .LBB45_50
; %bb.34:                               ;   in Loop: Header=BB45_3 Depth=1
	s_or_b32 exec_lo, exec_lo, s38
	s_and_saveexec_b32 s38, vcc_lo
	s_cbranch_execnz .LBB45_51
.LBB45_35:                              ;   in Loop: Header=BB45_3 Depth=1
	s_or_b32 exec_lo, exec_lo, s38
	s_and_saveexec_b32 s38, s0
	s_cbranch_execnz .LBB45_52
.LBB45_36:                              ;   in Loop: Header=BB45_3 Depth=1
	s_or_b32 exec_lo, exec_lo, s38
	s_and_saveexec_b32 s0, s1
	s_cbranch_execnz .LBB45_53
.LBB45_37:                              ;   in Loop: Header=BB45_3 Depth=1
	s_or_b32 exec_lo, exec_lo, s0
	s_and_saveexec_b32 s0, s2
	s_cbranch_execnz .LBB45_54
.LBB45_38:                              ;   in Loop: Header=BB45_3 Depth=1
	s_or_b32 exec_lo, exec_lo, s0
	s_and_saveexec_b32 s0, s3
	s_cbranch_execnz .LBB45_55
.LBB45_39:                              ;   in Loop: Header=BB45_3 Depth=1
	s_or_b32 exec_lo, exec_lo, s0
	s_and_saveexec_b32 s0, s4
	s_cbranch_execnz .LBB45_56
.LBB45_40:                              ;   in Loop: Header=BB45_3 Depth=1
	s_or_b32 exec_lo, exec_lo, s0
	s_and_saveexec_b32 s0, s5
	s_cbranch_execnz .LBB45_57
.LBB45_41:                              ;   in Loop: Header=BB45_3 Depth=1
	s_or_b32 exec_lo, exec_lo, s0
	s_and_saveexec_b32 s0, s6
	s_cbranch_execnz .LBB45_58
.LBB45_42:                              ;   in Loop: Header=BB45_3 Depth=1
	s_or_b32 exec_lo, exec_lo, s0
	s_and_saveexec_b32 s0, s7
	s_cbranch_execnz .LBB45_59
.LBB45_43:                              ;   in Loop: Header=BB45_3 Depth=1
	s_or_b32 exec_lo, exec_lo, s0
	s_and_saveexec_b32 s0, s8
	s_cbranch_execnz .LBB45_60
.LBB45_44:                              ;   in Loop: Header=BB45_3 Depth=1
	s_or_b32 exec_lo, exec_lo, s0
	s_and_saveexec_b32 s0, s9
	s_cbranch_execnz .LBB45_61
.LBB45_45:                              ;   in Loop: Header=BB45_3 Depth=1
	s_or_b32 exec_lo, exec_lo, s0
	s_and_saveexec_b32 s0, s10
	s_cbranch_execnz .LBB45_62
.LBB45_46:                              ;   in Loop: Header=BB45_3 Depth=1
	s_or_b32 exec_lo, exec_lo, s0
	s_and_saveexec_b32 s0, s11
	s_cbranch_execnz .LBB45_63
.LBB45_47:                              ;   in Loop: Header=BB45_3 Depth=1
	s_or_b32 exec_lo, exec_lo, s0
	s_and_saveexec_b32 s0, s12
	s_cbranch_execnz .LBB45_64
.LBB45_48:                              ;   in Loop: Header=BB45_3 Depth=1
	s_or_b32 exec_lo, exec_lo, s0
	s_and_saveexec_b32 s0, s13
	s_cbranch_execnz .LBB45_65
.LBB45_49:                              ;   in Loop: Header=BB45_3 Depth=1
	s_or_b32 exec_lo, exec_lo, s0
	s_and_saveexec_b32 s0, s14
	s_cbranch_execz .LBB45_2
	s_branch .LBB45_66
.LBB45_50:                              ;   in Loop: Header=BB45_3 Depth=1
	s_wait_loadcnt 0x0
	global_load_b64 v[32:33], v47, s[16:17] scale_offset
	s_wait_xcnt 0x0
	s_or_b32 exec_lo, exec_lo, s38
	s_and_saveexec_b32 s38, vcc_lo
	s_cbranch_execz .LBB45_35
.LBB45_51:                              ;   in Loop: Header=BB45_3 Depth=1
	s_wait_loadcnt 0x0
	global_store_b64 v0, v[2:3], s[18:19] scale_offset
	s_wait_xcnt 0x0
	s_or_b32 exec_lo, exec_lo, s38
	s_and_saveexec_b32 s38, s0
	s_cbranch_execz .LBB45_36
.LBB45_52:                              ;   in Loop: Header=BB45_3 Depth=1
	s_wait_loadcnt 0x0
	global_store_b64 v1, v[4:5], s[18:19] scale_offset
	s_wait_xcnt 0x0
	s_or_b32 exec_lo, exec_lo, s38
	s_and_saveexec_b32 s0, s1
	s_cbranch_execz .LBB45_37
.LBB45_53:                              ;   in Loop: Header=BB45_3 Depth=1
	s_wait_loadcnt 0x0
	global_store_b64 v34, v[6:7], s[18:19] scale_offset
	s_wait_xcnt 0x0
	s_or_b32 exec_lo, exec_lo, s0
	s_and_saveexec_b32 s0, s2
	s_cbranch_execz .LBB45_38
.LBB45_54:                              ;   in Loop: Header=BB45_3 Depth=1
	s_wait_loadcnt 0x0
	global_store_b64 v35, v[8:9], s[18:19] scale_offset
	s_wait_xcnt 0x0
	s_or_b32 exec_lo, exec_lo, s0
	s_and_saveexec_b32 s0, s3
	s_cbranch_execz .LBB45_39
.LBB45_55:                              ;   in Loop: Header=BB45_3 Depth=1
	s_wait_loadcnt 0x0
	global_store_b64 v36, v[10:11], s[18:19] scale_offset
	s_wait_xcnt 0x0
	s_or_b32 exec_lo, exec_lo, s0
	s_and_saveexec_b32 s0, s4
	s_cbranch_execz .LBB45_40
.LBB45_56:                              ;   in Loop: Header=BB45_3 Depth=1
	s_wait_loadcnt 0x0
	global_store_b64 v37, v[12:13], s[18:19] scale_offset
	s_wait_xcnt 0x0
	s_or_b32 exec_lo, exec_lo, s0
	s_and_saveexec_b32 s0, s5
	s_cbranch_execz .LBB45_41
.LBB45_57:                              ;   in Loop: Header=BB45_3 Depth=1
	s_wait_loadcnt 0x0
	global_store_b64 v38, v[14:15], s[18:19] scale_offset
	s_wait_xcnt 0x0
	s_or_b32 exec_lo, exec_lo, s0
	s_and_saveexec_b32 s0, s6
	s_cbranch_execz .LBB45_42
.LBB45_58:                              ;   in Loop: Header=BB45_3 Depth=1
	s_wait_loadcnt 0x0
	global_store_b64 v39, v[16:17], s[18:19] scale_offset
	s_wait_xcnt 0x0
	s_or_b32 exec_lo, exec_lo, s0
	s_and_saveexec_b32 s0, s7
	s_cbranch_execz .LBB45_43
.LBB45_59:                              ;   in Loop: Header=BB45_3 Depth=1
	s_wait_loadcnt 0x0
	global_store_b64 v40, v[18:19], s[18:19] scale_offset
	s_wait_xcnt 0x0
	s_or_b32 exec_lo, exec_lo, s0
	s_and_saveexec_b32 s0, s8
	s_cbranch_execz .LBB45_44
.LBB45_60:                              ;   in Loop: Header=BB45_3 Depth=1
	s_wait_loadcnt 0x0
	global_store_b64 v41, v[20:21], s[18:19] scale_offset
	s_wait_xcnt 0x0
	s_or_b32 exec_lo, exec_lo, s0
	s_and_saveexec_b32 s0, s9
	s_cbranch_execz .LBB45_45
.LBB45_61:                              ;   in Loop: Header=BB45_3 Depth=1
	s_wait_loadcnt 0x0
	global_store_b64 v42, v[22:23], s[18:19] scale_offset
	s_wait_xcnt 0x0
	s_or_b32 exec_lo, exec_lo, s0
	s_and_saveexec_b32 s0, s10
	s_cbranch_execz .LBB45_46
.LBB45_62:                              ;   in Loop: Header=BB45_3 Depth=1
	s_wait_loadcnt 0x0
	global_store_b64 v43, v[24:25], s[18:19] scale_offset
	s_wait_xcnt 0x0
	s_or_b32 exec_lo, exec_lo, s0
	s_and_saveexec_b32 s0, s11
	s_cbranch_execz .LBB45_47
.LBB45_63:                              ;   in Loop: Header=BB45_3 Depth=1
	s_wait_loadcnt 0x0
	global_store_b64 v44, v[26:27], s[18:19] scale_offset
	s_wait_xcnt 0x0
	s_or_b32 exec_lo, exec_lo, s0
	s_and_saveexec_b32 s0, s12
	s_cbranch_execz .LBB45_48
.LBB45_64:                              ;   in Loop: Header=BB45_3 Depth=1
	s_wait_loadcnt 0x0
	global_store_b64 v45, v[28:29], s[18:19] scale_offset
	s_wait_xcnt 0x0
	s_or_b32 exec_lo, exec_lo, s0
	s_and_saveexec_b32 s0, s13
	s_cbranch_execz .LBB45_49
.LBB45_65:                              ;   in Loop: Header=BB45_3 Depth=1
	s_wait_loadcnt 0x0
	global_store_b64 v46, v[30:31], s[18:19] scale_offset
	s_wait_xcnt 0x0
	s_or_b32 exec_lo, exec_lo, s0
	s_and_saveexec_b32 s0, s14
	s_cbranch_execz .LBB45_2
.LBB45_66:                              ;   in Loop: Header=BB45_3 Depth=1
	s_wait_loadcnt 0x0
	global_store_b64 v47, v[32:33], s[18:19] scale_offset
	s_branch .LBB45_2
.LBB45_67:
	s_endpgm
	.section	.rodata,"a",@progbits
	.p2align	6, 0x0
	.amdhsa_kernel _ZN9rocsolver6v33100L11stedc_copyCIdPdS2_EEviT0_iilT1_iil
		.amdhsa_group_segment_fixed_size 0
		.amdhsa_private_segment_fixed_size 0
		.amdhsa_kernarg_size 312
		.amdhsa_user_sgpr_count 2
		.amdhsa_user_sgpr_dispatch_ptr 0
		.amdhsa_user_sgpr_queue_ptr 0
		.amdhsa_user_sgpr_kernarg_segment_ptr 1
		.amdhsa_user_sgpr_dispatch_id 0
		.amdhsa_user_sgpr_kernarg_preload_length 0
		.amdhsa_user_sgpr_kernarg_preload_offset 0
		.amdhsa_user_sgpr_private_segment_size 0
		.amdhsa_wavefront_size32 1
		.amdhsa_uses_dynamic_stack 0
		.amdhsa_enable_private_segment 0
		.amdhsa_system_sgpr_workgroup_id_x 1
		.amdhsa_system_sgpr_workgroup_id_y 1
		.amdhsa_system_sgpr_workgroup_id_z 0
		.amdhsa_system_sgpr_workgroup_info 0
		.amdhsa_system_vgpr_workitem_id 0
		.amdhsa_next_free_vgpr 49
		.amdhsa_next_free_sgpr 39
		.amdhsa_named_barrier_count 0
		.amdhsa_reserve_vcc 1
		.amdhsa_float_round_mode_32 0
		.amdhsa_float_round_mode_16_64 0
		.amdhsa_float_denorm_mode_32 3
		.amdhsa_float_denorm_mode_16_64 3
		.amdhsa_fp16_overflow 0
		.amdhsa_memory_ordered 1
		.amdhsa_forward_progress 1
		.amdhsa_inst_pref_size 17
		.amdhsa_round_robin_scheduling 0
		.amdhsa_exception_fp_ieee_invalid_op 0
		.amdhsa_exception_fp_denorm_src 0
		.amdhsa_exception_fp_ieee_div_zero 0
		.amdhsa_exception_fp_ieee_overflow 0
		.amdhsa_exception_fp_ieee_underflow 0
		.amdhsa_exception_fp_ieee_inexact 0
		.amdhsa_exception_int_div_zero 0
	.end_amdhsa_kernel
	.section	.text._ZN9rocsolver6v33100L11stedc_copyCIdPdS2_EEviT0_iilT1_iil,"axG",@progbits,_ZN9rocsolver6v33100L11stedc_copyCIdPdS2_EEviT0_iilT1_iil,comdat
.Lfunc_end45:
	.size	_ZN9rocsolver6v33100L11stedc_copyCIdPdS2_EEviT0_iilT1_iil, .Lfunc_end45-_ZN9rocsolver6v33100L11stedc_copyCIdPdS2_EEviT0_iilT1_iil
                                        ; -- End function
	.set _ZN9rocsolver6v33100L11stedc_copyCIdPdS2_EEviT0_iilT1_iil.num_vgpr, 49
	.set _ZN9rocsolver6v33100L11stedc_copyCIdPdS2_EEviT0_iilT1_iil.num_agpr, 0
	.set _ZN9rocsolver6v33100L11stedc_copyCIdPdS2_EEviT0_iilT1_iil.numbered_sgpr, 39
	.set _ZN9rocsolver6v33100L11stedc_copyCIdPdS2_EEviT0_iilT1_iil.num_named_barrier, 0
	.set _ZN9rocsolver6v33100L11stedc_copyCIdPdS2_EEviT0_iilT1_iil.private_seg_size, 0
	.set _ZN9rocsolver6v33100L11stedc_copyCIdPdS2_EEviT0_iilT1_iil.uses_vcc, 1
	.set _ZN9rocsolver6v33100L11stedc_copyCIdPdS2_EEviT0_iilT1_iil.uses_flat_scratch, 0
	.set _ZN9rocsolver6v33100L11stedc_copyCIdPdS2_EEviT0_iilT1_iil.has_dyn_sized_stack, 0
	.set _ZN9rocsolver6v33100L11stedc_copyCIdPdS2_EEviT0_iilT1_iil.has_recursion, 0
	.set _ZN9rocsolver6v33100L11stedc_copyCIdPdS2_EEviT0_iilT1_iil.has_indirect_call, 0
	.section	.AMDGPU.csdata,"",@progbits
; Kernel info:
; codeLenInByte = 2156
; TotalNumSgprs: 41
; NumVgprs: 49
; ScratchSize: 0
; MemoryBound: 0
; FloatMode: 240
; IeeeMode: 1
; LDSByteSize: 0 bytes/workgroup (compile time only)
; SGPRBlocks: 0
; VGPRBlocks: 3
; NumSGPRsForWavesPerEU: 41
; NumVGPRsForWavesPerEU: 49
; NamedBarCnt: 0
; Occupancy: 16
; WaveLimiterHint : 0
; COMPUTE_PGM_RSRC2:SCRATCH_EN: 0
; COMPUTE_PGM_RSRC2:USER_SGPR: 2
; COMPUTE_PGM_RSRC2:TRAP_HANDLER: 0
; COMPUTE_PGM_RSRC2:TGID_X_EN: 1
; COMPUTE_PGM_RSRC2:TGID_Y_EN: 1
; COMPUTE_PGM_RSRC2:TGID_Z_EN: 0
; COMPUTE_PGM_RSRC2:TIDIG_COMP_CNT: 0
	.section	.text._ZN9rocsolver6v33100L16stedc_reshuffleCIdPdS2_EEviT0_iilT1_iilPi,"axG",@progbits,_ZN9rocsolver6v33100L16stedc_reshuffleCIdPdS2_EEviT0_iilT1_iilPi,comdat
	.globl	_ZN9rocsolver6v33100L16stedc_reshuffleCIdPdS2_EEviT0_iilT1_iilPi ; -- Begin function _ZN9rocsolver6v33100L16stedc_reshuffleCIdPdS2_EEviT0_iilT1_iilPi
	.p2align	8
	.type	_ZN9rocsolver6v33100L16stedc_reshuffleCIdPdS2_EEviT0_iilT1_iilPi,@function
_ZN9rocsolver6v33100L16stedc_reshuffleCIdPdS2_EEviT0_iilT1_iilPi: ; @_ZN9rocsolver6v33100L16stedc_reshuffleCIdPdS2_EEviT0_iilT1_iilPi
; %bb.0:
	s_clause 0x1
	s_load_b32 s2, s[0:1], 0x4c
	s_load_b32 s22, s[0:1], 0x0
	s_wait_kmcnt 0x0
	s_and_b32 s20, s2, 0xffff
	s_add_co_i32 s4, s22, -1
	s_lshl_b32 s21, s20, 4
	s_abs_i32 s5, s4
	s_cvt_f32_u32 s2, s21
	s_sub_co_i32 s3, 0, s21
	s_ashr_i32 s4, s4, 31
	s_delay_alu instid0(SALU_CYCLE_1) | instskip(SKIP_1) | instid1(TRANS32_DEP_1)
	v_rcp_iflag_f32_e32 v1, s2
	v_nop
	v_readfirstlane_b32 s2, v1
	s_mul_f32 s2, s2, 0x4f7ffffe
	s_delay_alu instid0(SALU_CYCLE_3) | instskip(NEXT) | instid1(SALU_CYCLE_3)
	s_cvt_u32_f32 s2, s2
	s_mul_i32 s3, s3, s2
	s_delay_alu instid0(SALU_CYCLE_1) | instskip(NEXT) | instid1(SALU_CYCLE_1)
	s_mul_hi_u32 s3, s2, s3
	s_add_co_i32 s2, s2, s3
	s_delay_alu instid0(SALU_CYCLE_1) | instskip(NEXT) | instid1(SALU_CYCLE_1)
	s_mul_hi_u32 s2, s5, s2
	s_mul_i32 s3, s2, s21
	s_delay_alu instid0(SALU_CYCLE_1)
	s_sub_co_i32 s3, s5, s3
	s_add_co_i32 s5, s2, 1
	s_sub_co_i32 s6, s3, s21
	s_cmp_ge_u32 s3, s21
	s_cselect_b32 s2, s5, s2
	s_cselect_b32 s3, s6, s3
	s_add_co_i32 s5, s2, 1
	s_cmp_ge_u32 s3, s21
	s_cselect_b32 s2, s5, s2
	s_delay_alu instid0(SALU_CYCLE_1) | instskip(NEXT) | instid1(SALU_CYCLE_1)
	s_xor_b32 s2, s2, s4
	s_sub_co_i32 s2, s2, s4
	s_delay_alu instid0(SALU_CYCLE_1)
	s_cmp_lt_i32 s2, 0
	s_cbranch_scc1 .LBB46_67
; %bb.1:
	s_bfe_u32 s3, ttmp6, 0x4000c
	s_clause 0x1
	s_load_b128 s[12:15], s[0:1], 0x30
	s_load_b64 s[18:19], s[0:1], 0x28
	s_add_co_i32 s3, s3, 1
	s_bfe_u32 s5, ttmp6, 0x40010
	s_and_b32 s4, ttmp6, 15
	s_mul_i32 s3, ttmp9, s3
	s_add_co_i32 s5, s5, 1
	s_add_co_i32 s3, s4, s3
	s_mul_i32 s4, ttmp7, s5
	s_bfe_u32 s5, ttmp6, 0x40004
	s_getreg_b32 s6, hwreg(HW_REG_IB_STS2, 6, 4)
	s_add_co_i32 s5, s5, s4
	s_cmp_eq_u32 s6, 0
	s_mul_i32 s26, s22, 10
	s_cselect_b32 s16, ttmp7, s5
	s_load_b256 s[4:11], s[0:1], 0x8
	s_mul_i32 s17, s16, s22
	s_cselect_b32 s24, ttmp9, s3
	s_wait_xcnt 0x0
	s_mul_i32 s0, s17, 13
	s_ashr_i32 s27, s26, 31
	s_ashr_i32 s1, s0, 31
	;; [unrolled: 1-line block ×3, first 2 shown]
	s_lshl_b64 s[0:1], s[0:1], 2
	s_ashr_i32 s17, s16, 31
	s_wait_kmcnt 0x0
	s_add_nc_u64 s[0:1], s[14:15], s[0:1]
	s_lshl_b64 s[14:15], s[26:27], 2
	s_mul_u64 s[12:13], s[12:13], s[16:17]
	s_add_nc_u64 s[0:1], s[0:1], s[14:15]
	s_lshl_b64 s[14:15], s[24:25], 2
	v_mov_b32_e32 v2, 0
	s_add_nc_u64 s[0:1], s[0:1], s[14:15]
	s_ashr_i32 s15, s18, 31
	s_load_b32 s3, s[0:1], 0x0
	s_mov_b32 s14, s18
	s_lshl_b64 s[12:13], s[12:13], 3
	s_mul_u64 s[8:9], s[8:9], s[16:17]
	s_wait_xcnt 0x0
	s_ashr_i32 s1, s6, 31
	s_mov_b32 s0, s6
	s_mul_i32 s16, s19, s24
	s_lshl_b64 s[8:9], s[8:9], 3
	s_lshl_b64 s[0:1], s[0:1], 3
	;; [unrolled: 1-line block ×3, first 2 shown]
	s_ashr_i32 s17, s16, 31
	s_add_nc_u64 s[4:5], s[4:5], s[8:9]
	s_add_nc_u64 s[8:9], s[10:11], s[12:13]
	v_dual_mov_b32 v3, v2 :: v_dual_mov_b32 v4, v2
	v_dual_mov_b32 v5, v2 :: v_dual_mov_b32 v6, v2
	;; [unrolled: 1-line block ×4, first 2 shown]
	s_wait_kmcnt 0x0
	s_mul_i32 s6, s3, s7
	v_dual_mov_b32 v11, v2 :: v_dual_mov_b32 v12, v2
	s_ashr_i32 s7, s6, 31
	v_dual_mov_b32 v13, v2 :: v_dual_mov_b32 v14, v2
	v_dual_mov_b32 v15, v2 :: v_dual_mov_b32 v16, v2
	;; [unrolled: 1-line block ×10, first 2 shown]
	v_mov_b32_e32 v33, v2
	s_lshl_b64 s[10:11], s[16:17], 3
	s_add_nc_u64 s[0:1], s[4:5], s[0:1]
	s_add_nc_u64 s[4:5], s[8:9], s[14:15]
	s_lshl_b64 s[6:7], s[6:7], 3
	s_add_nc_u64 s[16:17], s[4:5], s[10:11]
	s_add_nc_u64 s[18:19], s[0:1], s[6:7]
	s_add_co_i32 s15, s2, 1
	s_lshl_b32 s23, s20, 1
	s_mul_i32 s24, s20, 3
	s_lshl_b32 s25, s20, 2
	s_mul_i32 s26, s20, 5
	s_mul_i32 s27, s20, 6
	;; [unrolled: 1-line block ×3, first 2 shown]
	s_lshl_b32 s29, s20, 3
	s_mul_i32 s30, s20, 9
	s_mul_i32 s31, s20, 10
	s_mul_i32 s33, s20, 11
	s_mul_i32 s34, s20, 12
	s_mul_i32 s35, s20, 13
	s_mul_i32 s36, s20, 14
	s_mul_i32 s37, s20, 15
	s_branch .LBB46_3
.LBB46_2:                               ;   in Loop: Header=BB46_3 Depth=1
	s_wait_xcnt 0x0
	s_or_b32 exec_lo, exec_lo, s0
	v_add_nc_u32_e32 v0, s21, v0
	s_add_co_i32 s15, s15, -1
	s_delay_alu instid0(SALU_CYCLE_1)
	s_cmp_eq_u32 s15, 0
	s_cbranch_scc1 .LBB46_67
.LBB46_3:                               ; =>This Inner Loop Header: Depth=1
	s_delay_alu instid0(VALU_DEP_1)
	v_cmp_gt_i32_e32 vcc_lo, s22, v0
	s_and_saveexec_b32 s0, vcc_lo
	s_cbranch_execz .LBB46_5
; %bb.4:                                ;   in Loop: Header=BB46_3 Depth=1
	s_wait_loadcnt 0x0
	global_load_b64 v[2:3], v0, s[18:19] scale_offset
.LBB46_5:                               ;   in Loop: Header=BB46_3 Depth=1
	s_wait_xcnt 0x0
	s_or_b32 exec_lo, exec_lo, s0
	v_add_nc_u32_e32 v1, s20, v0
	s_delay_alu instid0(VALU_DEP_1)
	v_cmp_gt_i32_e64 s0, s22, v1
	s_and_saveexec_b32 s1, s0
	s_cbranch_execz .LBB46_7
; %bb.6:                                ;   in Loop: Header=BB46_3 Depth=1
	s_wait_loadcnt 0x0
	global_load_b64 v[4:5], v1, s[18:19] scale_offset
.LBB46_7:                               ;   in Loop: Header=BB46_3 Depth=1
	s_wait_xcnt 0x0
	s_or_b32 exec_lo, exec_lo, s1
	v_dual_add_nc_u32 v35, s20, v1 :: v_dual_add_nc_u32 v34, s23, v0
	s_delay_alu instid0(VALU_DEP_1)
	v_cmp_gt_i32_e64 s1, s22, v35
	s_and_saveexec_b32 s2, s1
	s_cbranch_execz .LBB46_9
; %bb.8:                                ;   in Loop: Header=BB46_3 Depth=1
	s_wait_loadcnt 0x0
	global_load_b64 v[6:7], v34, s[18:19] scale_offset
.LBB46_9:                               ;   in Loop: Header=BB46_3 Depth=1
	s_wait_xcnt 0x0
	s_or_b32 exec_lo, exec_lo, s2
	v_dual_add_nc_u32 v36, s20, v35 :: v_dual_add_nc_u32 v35, s24, v0
	s_delay_alu instid0(VALU_DEP_1)
	v_cmp_gt_i32_e64 s2, s22, v36
	s_and_saveexec_b32 s3, s2
	s_cbranch_execz .LBB46_11
; %bb.10:                               ;   in Loop: Header=BB46_3 Depth=1
	s_wait_loadcnt 0x0
	global_load_b64 v[8:9], v35, s[18:19] scale_offset
.LBB46_11:                              ;   in Loop: Header=BB46_3 Depth=1
	s_wait_xcnt 0x0
	s_or_b32 exec_lo, exec_lo, s3
	v_add_nc_u32_e32 v37, s20, v36
	v_add_nc_u32_e32 v36, s25, v0
	s_delay_alu instid0(VALU_DEP_2)
	v_cmp_gt_i32_e64 s3, s22, v37
	s_and_saveexec_b32 s4, s3
	s_cbranch_execz .LBB46_13
; %bb.12:                               ;   in Loop: Header=BB46_3 Depth=1
	s_wait_loadcnt 0x0
	global_load_b64 v[10:11], v36, s[18:19] scale_offset
.LBB46_13:                              ;   in Loop: Header=BB46_3 Depth=1
	s_wait_xcnt 0x0
	s_or_b32 exec_lo, exec_lo, s4
	v_dual_add_nc_u32 v38, s20, v37 :: v_dual_add_nc_u32 v37, s26, v0
	s_delay_alu instid0(VALU_DEP_1)
	v_cmp_gt_i32_e64 s4, s22, v38
	s_and_saveexec_b32 s5, s4
	s_cbranch_execz .LBB46_15
; %bb.14:                               ;   in Loop: Header=BB46_3 Depth=1
	s_wait_loadcnt 0x0
	global_load_b64 v[12:13], v37, s[18:19] scale_offset
.LBB46_15:                              ;   in Loop: Header=BB46_3 Depth=1
	s_wait_xcnt 0x0
	s_or_b32 exec_lo, exec_lo, s5
	v_dual_add_nc_u32 v39, s20, v38 :: v_dual_add_nc_u32 v38, s27, v0
	s_delay_alu instid0(VALU_DEP_1)
	v_cmp_gt_i32_e64 s5, s22, v39
	s_and_saveexec_b32 s6, s5
	s_cbranch_execz .LBB46_17
; %bb.16:                               ;   in Loop: Header=BB46_3 Depth=1
	s_wait_loadcnt 0x0
	global_load_b64 v[14:15], v38, s[18:19] scale_offset
.LBB46_17:                              ;   in Loop: Header=BB46_3 Depth=1
	s_wait_xcnt 0x0
	s_or_b32 exec_lo, exec_lo, s6
	v_dual_add_nc_u32 v40, s20, v39 :: v_dual_add_nc_u32 v39, s28, v0
	s_delay_alu instid0(VALU_DEP_1)
	v_cmp_gt_i32_e64 s6, s22, v40
	s_and_saveexec_b32 s7, s6
	s_cbranch_execz .LBB46_19
; %bb.18:                               ;   in Loop: Header=BB46_3 Depth=1
	s_wait_loadcnt 0x0
	global_load_b64 v[16:17], v39, s[18:19] scale_offset
.LBB46_19:                              ;   in Loop: Header=BB46_3 Depth=1
	s_wait_xcnt 0x0
	s_or_b32 exec_lo, exec_lo, s7
	v_add_nc_u32_e32 v41, s20, v40
	v_add_nc_u32_e32 v40, s29, v0
	s_delay_alu instid0(VALU_DEP_2)
	v_cmp_gt_i32_e64 s7, s22, v41
	s_and_saveexec_b32 s8, s7
	s_cbranch_execz .LBB46_21
; %bb.20:                               ;   in Loop: Header=BB46_3 Depth=1
	s_wait_loadcnt 0x0
	global_load_b64 v[18:19], v40, s[18:19] scale_offset
.LBB46_21:                              ;   in Loop: Header=BB46_3 Depth=1
	s_wait_xcnt 0x0
	s_or_b32 exec_lo, exec_lo, s8
	v_dual_add_nc_u32 v42, s20, v41 :: v_dual_add_nc_u32 v41, s30, v0
	s_delay_alu instid0(VALU_DEP_1)
	v_cmp_gt_i32_e64 s8, s22, v42
	s_and_saveexec_b32 s9, s8
	s_cbranch_execz .LBB46_23
; %bb.22:                               ;   in Loop: Header=BB46_3 Depth=1
	s_wait_loadcnt 0x0
	global_load_b64 v[20:21], v41, s[18:19] scale_offset
.LBB46_23:                              ;   in Loop: Header=BB46_3 Depth=1
	s_wait_xcnt 0x0
	s_or_b32 exec_lo, exec_lo, s9
	v_dual_add_nc_u32 v43, s20, v42 :: v_dual_add_nc_u32 v42, s31, v0
	s_delay_alu instid0(VALU_DEP_1)
	v_cmp_gt_i32_e64 s9, s22, v43
	s_and_saveexec_b32 s10, s9
	s_cbranch_execz .LBB46_25
; %bb.24:                               ;   in Loop: Header=BB46_3 Depth=1
	s_wait_loadcnt 0x0
	global_load_b64 v[22:23], v42, s[18:19] scale_offset
.LBB46_25:                              ;   in Loop: Header=BB46_3 Depth=1
	;; [unrolled: 45-line block ×3, first 2 shown]
	s_wait_xcnt 0x0
	s_or_b32 exec_lo, exec_lo, s14
	v_dual_add_nc_u32 v48, s20, v47 :: v_dual_add_nc_u32 v47, s37, v0
	s_delay_alu instid0(VALU_DEP_1)
	v_cmp_gt_i32_e64 s14, s22, v48
	s_and_saveexec_b32 s38, s14
	s_cbranch_execnz .LBB46_50
; %bb.34:                               ;   in Loop: Header=BB46_3 Depth=1
	s_or_b32 exec_lo, exec_lo, s38
	s_and_saveexec_b32 s38, vcc_lo
	s_cbranch_execnz .LBB46_51
.LBB46_35:                              ;   in Loop: Header=BB46_3 Depth=1
	s_or_b32 exec_lo, exec_lo, s38
	s_and_saveexec_b32 s38, s0
	s_cbranch_execnz .LBB46_52
.LBB46_36:                              ;   in Loop: Header=BB46_3 Depth=1
	s_or_b32 exec_lo, exec_lo, s38
	s_and_saveexec_b32 s0, s1
	s_cbranch_execnz .LBB46_53
.LBB46_37:                              ;   in Loop: Header=BB46_3 Depth=1
	s_or_b32 exec_lo, exec_lo, s0
	s_and_saveexec_b32 s0, s2
	s_cbranch_execnz .LBB46_54
.LBB46_38:                              ;   in Loop: Header=BB46_3 Depth=1
	s_or_b32 exec_lo, exec_lo, s0
	s_and_saveexec_b32 s0, s3
	s_cbranch_execnz .LBB46_55
.LBB46_39:                              ;   in Loop: Header=BB46_3 Depth=1
	s_or_b32 exec_lo, exec_lo, s0
	s_and_saveexec_b32 s0, s4
	s_cbranch_execnz .LBB46_56
.LBB46_40:                              ;   in Loop: Header=BB46_3 Depth=1
	s_or_b32 exec_lo, exec_lo, s0
	s_and_saveexec_b32 s0, s5
	s_cbranch_execnz .LBB46_57
.LBB46_41:                              ;   in Loop: Header=BB46_3 Depth=1
	s_or_b32 exec_lo, exec_lo, s0
	s_and_saveexec_b32 s0, s6
	s_cbranch_execnz .LBB46_58
.LBB46_42:                              ;   in Loop: Header=BB46_3 Depth=1
	s_or_b32 exec_lo, exec_lo, s0
	s_and_saveexec_b32 s0, s7
	s_cbranch_execnz .LBB46_59
.LBB46_43:                              ;   in Loop: Header=BB46_3 Depth=1
	s_or_b32 exec_lo, exec_lo, s0
	s_and_saveexec_b32 s0, s8
	s_cbranch_execnz .LBB46_60
.LBB46_44:                              ;   in Loop: Header=BB46_3 Depth=1
	s_or_b32 exec_lo, exec_lo, s0
	s_and_saveexec_b32 s0, s9
	s_cbranch_execnz .LBB46_61
.LBB46_45:                              ;   in Loop: Header=BB46_3 Depth=1
	s_or_b32 exec_lo, exec_lo, s0
	s_and_saveexec_b32 s0, s10
	s_cbranch_execnz .LBB46_62
.LBB46_46:                              ;   in Loop: Header=BB46_3 Depth=1
	s_or_b32 exec_lo, exec_lo, s0
	s_and_saveexec_b32 s0, s11
	s_cbranch_execnz .LBB46_63
.LBB46_47:                              ;   in Loop: Header=BB46_3 Depth=1
	s_or_b32 exec_lo, exec_lo, s0
	s_and_saveexec_b32 s0, s12
	s_cbranch_execnz .LBB46_64
.LBB46_48:                              ;   in Loop: Header=BB46_3 Depth=1
	s_or_b32 exec_lo, exec_lo, s0
	s_and_saveexec_b32 s0, s13
	s_cbranch_execnz .LBB46_65
.LBB46_49:                              ;   in Loop: Header=BB46_3 Depth=1
	s_or_b32 exec_lo, exec_lo, s0
	s_and_saveexec_b32 s0, s14
	s_cbranch_execz .LBB46_2
	s_branch .LBB46_66
.LBB46_50:                              ;   in Loop: Header=BB46_3 Depth=1
	s_wait_loadcnt 0x0
	global_load_b64 v[32:33], v47, s[18:19] scale_offset
	s_wait_xcnt 0x0
	s_or_b32 exec_lo, exec_lo, s38
	s_and_saveexec_b32 s38, vcc_lo
	s_cbranch_execz .LBB46_35
.LBB46_51:                              ;   in Loop: Header=BB46_3 Depth=1
	s_wait_loadcnt 0x0
	global_store_b64 v0, v[2:3], s[16:17] scale_offset
	s_wait_xcnt 0x0
	s_or_b32 exec_lo, exec_lo, s38
	s_and_saveexec_b32 s38, s0
	s_cbranch_execz .LBB46_36
.LBB46_52:                              ;   in Loop: Header=BB46_3 Depth=1
	s_wait_loadcnt 0x0
	global_store_b64 v1, v[4:5], s[16:17] scale_offset
	s_wait_xcnt 0x0
	s_or_b32 exec_lo, exec_lo, s38
	s_and_saveexec_b32 s0, s1
	s_cbranch_execz .LBB46_37
.LBB46_53:                              ;   in Loop: Header=BB46_3 Depth=1
	s_wait_loadcnt 0x0
	global_store_b64 v34, v[6:7], s[16:17] scale_offset
	s_wait_xcnt 0x0
	s_or_b32 exec_lo, exec_lo, s0
	s_and_saveexec_b32 s0, s2
	s_cbranch_execz .LBB46_38
.LBB46_54:                              ;   in Loop: Header=BB46_3 Depth=1
	s_wait_loadcnt 0x0
	global_store_b64 v35, v[8:9], s[16:17] scale_offset
	s_wait_xcnt 0x0
	s_or_b32 exec_lo, exec_lo, s0
	s_and_saveexec_b32 s0, s3
	s_cbranch_execz .LBB46_39
.LBB46_55:                              ;   in Loop: Header=BB46_3 Depth=1
	s_wait_loadcnt 0x0
	global_store_b64 v36, v[10:11], s[16:17] scale_offset
	s_wait_xcnt 0x0
	s_or_b32 exec_lo, exec_lo, s0
	s_and_saveexec_b32 s0, s4
	s_cbranch_execz .LBB46_40
.LBB46_56:                              ;   in Loop: Header=BB46_3 Depth=1
	s_wait_loadcnt 0x0
	global_store_b64 v37, v[12:13], s[16:17] scale_offset
	s_wait_xcnt 0x0
	s_or_b32 exec_lo, exec_lo, s0
	s_and_saveexec_b32 s0, s5
	s_cbranch_execz .LBB46_41
.LBB46_57:                              ;   in Loop: Header=BB46_3 Depth=1
	s_wait_loadcnt 0x0
	global_store_b64 v38, v[14:15], s[16:17] scale_offset
	s_wait_xcnt 0x0
	s_or_b32 exec_lo, exec_lo, s0
	s_and_saveexec_b32 s0, s6
	s_cbranch_execz .LBB46_42
.LBB46_58:                              ;   in Loop: Header=BB46_3 Depth=1
	s_wait_loadcnt 0x0
	global_store_b64 v39, v[16:17], s[16:17] scale_offset
	s_wait_xcnt 0x0
	s_or_b32 exec_lo, exec_lo, s0
	s_and_saveexec_b32 s0, s7
	s_cbranch_execz .LBB46_43
.LBB46_59:                              ;   in Loop: Header=BB46_3 Depth=1
	s_wait_loadcnt 0x0
	global_store_b64 v40, v[18:19], s[16:17] scale_offset
	s_wait_xcnt 0x0
	s_or_b32 exec_lo, exec_lo, s0
	s_and_saveexec_b32 s0, s8
	s_cbranch_execz .LBB46_44
.LBB46_60:                              ;   in Loop: Header=BB46_3 Depth=1
	s_wait_loadcnt 0x0
	global_store_b64 v41, v[20:21], s[16:17] scale_offset
	s_wait_xcnt 0x0
	s_or_b32 exec_lo, exec_lo, s0
	s_and_saveexec_b32 s0, s9
	s_cbranch_execz .LBB46_45
.LBB46_61:                              ;   in Loop: Header=BB46_3 Depth=1
	s_wait_loadcnt 0x0
	global_store_b64 v42, v[22:23], s[16:17] scale_offset
	s_wait_xcnt 0x0
	s_or_b32 exec_lo, exec_lo, s0
	s_and_saveexec_b32 s0, s10
	s_cbranch_execz .LBB46_46
.LBB46_62:                              ;   in Loop: Header=BB46_3 Depth=1
	s_wait_loadcnt 0x0
	global_store_b64 v43, v[24:25], s[16:17] scale_offset
	s_wait_xcnt 0x0
	s_or_b32 exec_lo, exec_lo, s0
	s_and_saveexec_b32 s0, s11
	s_cbranch_execz .LBB46_47
.LBB46_63:                              ;   in Loop: Header=BB46_3 Depth=1
	s_wait_loadcnt 0x0
	global_store_b64 v44, v[26:27], s[16:17] scale_offset
	s_wait_xcnt 0x0
	s_or_b32 exec_lo, exec_lo, s0
	s_and_saveexec_b32 s0, s12
	s_cbranch_execz .LBB46_48
.LBB46_64:                              ;   in Loop: Header=BB46_3 Depth=1
	s_wait_loadcnt 0x0
	global_store_b64 v45, v[28:29], s[16:17] scale_offset
	s_wait_xcnt 0x0
	s_or_b32 exec_lo, exec_lo, s0
	s_and_saveexec_b32 s0, s13
	s_cbranch_execz .LBB46_49
.LBB46_65:                              ;   in Loop: Header=BB46_3 Depth=1
	s_wait_loadcnt 0x0
	global_store_b64 v46, v[30:31], s[16:17] scale_offset
	s_wait_xcnt 0x0
	s_or_b32 exec_lo, exec_lo, s0
	s_and_saveexec_b32 s0, s14
	s_cbranch_execz .LBB46_2
.LBB46_66:                              ;   in Loop: Header=BB46_3 Depth=1
	s_wait_loadcnt 0x0
	global_store_b64 v47, v[32:33], s[16:17] scale_offset
	s_branch .LBB46_2
.LBB46_67:
	s_endpgm
	.section	.rodata,"a",@progbits
	.p2align	6, 0x0
	.amdhsa_kernel _ZN9rocsolver6v33100L16stedc_reshuffleCIdPdS2_EEviT0_iilT1_iilPi
		.amdhsa_group_segment_fixed_size 0
		.amdhsa_private_segment_fixed_size 0
		.amdhsa_kernarg_size 320
		.amdhsa_user_sgpr_count 2
		.amdhsa_user_sgpr_dispatch_ptr 0
		.amdhsa_user_sgpr_queue_ptr 0
		.amdhsa_user_sgpr_kernarg_segment_ptr 1
		.amdhsa_user_sgpr_dispatch_id 0
		.amdhsa_user_sgpr_kernarg_preload_length 0
		.amdhsa_user_sgpr_kernarg_preload_offset 0
		.amdhsa_user_sgpr_private_segment_size 0
		.amdhsa_wavefront_size32 1
		.amdhsa_uses_dynamic_stack 0
		.amdhsa_enable_private_segment 0
		.amdhsa_system_sgpr_workgroup_id_x 1
		.amdhsa_system_sgpr_workgroup_id_y 1
		.amdhsa_system_sgpr_workgroup_id_z 0
		.amdhsa_system_sgpr_workgroup_info 0
		.amdhsa_system_vgpr_workitem_id 0
		.amdhsa_next_free_vgpr 49
		.amdhsa_next_free_sgpr 39
		.amdhsa_named_barrier_count 0
		.amdhsa_reserve_vcc 1
		.amdhsa_float_round_mode_32 0
		.amdhsa_float_round_mode_16_64 0
		.amdhsa_float_denorm_mode_32 3
		.amdhsa_float_denorm_mode_16_64 3
		.amdhsa_fp16_overflow 0
		.amdhsa_memory_ordered 1
		.amdhsa_forward_progress 1
		.amdhsa_inst_pref_size 18
		.amdhsa_round_robin_scheduling 0
		.amdhsa_exception_fp_ieee_invalid_op 0
		.amdhsa_exception_fp_denorm_src 0
		.amdhsa_exception_fp_ieee_div_zero 0
		.amdhsa_exception_fp_ieee_overflow 0
		.amdhsa_exception_fp_ieee_underflow 0
		.amdhsa_exception_fp_ieee_inexact 0
		.amdhsa_exception_int_div_zero 0
	.end_amdhsa_kernel
	.section	.text._ZN9rocsolver6v33100L16stedc_reshuffleCIdPdS2_EEviT0_iilT1_iilPi,"axG",@progbits,_ZN9rocsolver6v33100L16stedc_reshuffleCIdPdS2_EEviT0_iilT1_iilPi,comdat
.Lfunc_end46:
	.size	_ZN9rocsolver6v33100L16stedc_reshuffleCIdPdS2_EEviT0_iilT1_iilPi, .Lfunc_end46-_ZN9rocsolver6v33100L16stedc_reshuffleCIdPdS2_EEviT0_iilT1_iilPi
                                        ; -- End function
	.set _ZN9rocsolver6v33100L16stedc_reshuffleCIdPdS2_EEviT0_iilT1_iilPi.num_vgpr, 49
	.set _ZN9rocsolver6v33100L16stedc_reshuffleCIdPdS2_EEviT0_iilT1_iilPi.num_agpr, 0
	.set _ZN9rocsolver6v33100L16stedc_reshuffleCIdPdS2_EEviT0_iilT1_iilPi.numbered_sgpr, 39
	.set _ZN9rocsolver6v33100L16stedc_reshuffleCIdPdS2_EEviT0_iilT1_iilPi.num_named_barrier, 0
	.set _ZN9rocsolver6v33100L16stedc_reshuffleCIdPdS2_EEviT0_iilT1_iilPi.private_seg_size, 0
	.set _ZN9rocsolver6v33100L16stedc_reshuffleCIdPdS2_EEviT0_iilT1_iilPi.uses_vcc, 1
	.set _ZN9rocsolver6v33100L16stedc_reshuffleCIdPdS2_EEviT0_iilT1_iilPi.uses_flat_scratch, 0
	.set _ZN9rocsolver6v33100L16stedc_reshuffleCIdPdS2_EEviT0_iilT1_iilPi.has_dyn_sized_stack, 0
	.set _ZN9rocsolver6v33100L16stedc_reshuffleCIdPdS2_EEviT0_iilT1_iilPi.has_recursion, 0
	.set _ZN9rocsolver6v33100L16stedc_reshuffleCIdPdS2_EEviT0_iilT1_iilPi.has_indirect_call, 0
	.section	.AMDGPU.csdata,"",@progbits
; Kernel info:
; codeLenInByte = 2228
; TotalNumSgprs: 41
; NumVgprs: 49
; ScratchSize: 0
; MemoryBound: 0
; FloatMode: 240
; IeeeMode: 1
; LDSByteSize: 0 bytes/workgroup (compile time only)
; SGPRBlocks: 0
; VGPRBlocks: 3
; NumSGPRsForWavesPerEU: 41
; NumVGPRsForWavesPerEU: 49
; NamedBarCnt: 0
; Occupancy: 16
; WaveLimiterHint : 1
; COMPUTE_PGM_RSRC2:SCRATCH_EN: 0
; COMPUTE_PGM_RSRC2:USER_SGPR: 2
; COMPUTE_PGM_RSRC2:TRAP_HANDLER: 0
; COMPUTE_PGM_RSRC2:TGID_X_EN: 1
; COMPUTE_PGM_RSRC2:TGID_Y_EN: 1
; COMPUTE_PGM_RSRC2:TGID_Z_EN: 0
; COMPUTE_PGM_RSRC2:TIDIG_COMP_CNT: 0
	.section	.text._ZN9rocsolver6v33100L30stedc_mergeValues_Solve_kernelIdEEviiPT_lS3_lS3_S3_PiS2_S2_S2_,"axG",@progbits,_ZN9rocsolver6v33100L30stedc_mergeValues_Solve_kernelIdEEviiPT_lS3_lS3_S3_PiS2_S2_S2_,comdat
	.globl	_ZN9rocsolver6v33100L30stedc_mergeValues_Solve_kernelIdEEviiPT_lS3_lS3_S3_PiS2_S2_S2_ ; -- Begin function _ZN9rocsolver6v33100L30stedc_mergeValues_Solve_kernelIdEEviiPT_lS3_lS3_S3_PiS2_S2_S2_
	.p2align	8
	.type	_ZN9rocsolver6v33100L30stedc_mergeValues_Solve_kernelIdEEviiPT_lS3_lS3_S3_PiS2_S2_S2_,@function
_ZN9rocsolver6v33100L30stedc_mergeValues_Solve_kernelIdEEviiPT_lS3_lS3_S3_PiS2_S2_S2_: ; @_ZN9rocsolver6v33100L30stedc_mergeValues_Solve_kernelIdEEviiPT_lS3_lS3_S3_PiS2_S2_S2_
; %bb.0:
	s_clause 0x1
	s_load_b32 s4, s[0:1], 0x64
	s_load_b32 s2, s[0:1], 0x4
	s_bfe_u32 s3, ttmp6, 0x4000c
	s_and_b32 s5, ttmp6, 15
	s_add_co_i32 s6, s3, 1
	s_getreg_b32 s3, hwreg(HW_REG_IB_STS2, 6, 4)
	s_mul_i32 s6, ttmp9, s6
	s_delay_alu instid0(SALU_CYCLE_1) | instskip(SKIP_4) | instid1(SALU_CYCLE_1)
	s_add_co_i32 s5, s5, s6
	s_wait_kmcnt 0x0
	s_and_b32 s4, s4, 0xffff
	s_cmp_eq_u32 s3, 0
	s_cselect_b32 s5, ttmp9, s5
	v_mad_u32 v4, s5, s4, v0
	s_mov_b32 s4, exec_lo
	s_delay_alu instid0(VALU_DEP_1)
	v_cmpx_gt_i32_e64 s2, v4
	s_cbranch_execz .LBB47_198
; %bb.1:
	s_load_b256 s[8:15], s[0:1], 0x28
	s_wait_xcnt 0x0
	s_bfe_u32 s0, ttmp6, 0x40010
	s_bfe_u32 s1, ttmp6, 0x40004
	s_add_co_i32 s0, s0, 1
	s_mul_i32 s6, s2, 6
	s_mul_i32 s0, ttmp7, s0
	s_delay_alu instid0(SALU_CYCLE_1)
	s_add_co_i32 s1, s1, s0
	s_cmp_eq_u32 s3, 0
	s_cselect_b32 s0, ttmp7, s1
	s_ashr_i32 s7, s6, 31
	s_mul_i32 s0, s2, s0
	s_lshl_b64 s[6:7], s[6:7], 2
	s_mul_i32 s4, s0, 13
	s_ashr_i32 s3, s2, 31
	s_ashr_i32 s5, s4, 31
	s_delay_alu instid0(SALU_CYCLE_1) | instskip(SKIP_2) | instid1(SALU_CYCLE_1)
	s_lshl_b64 s[4:5], s[4:5], 2
	s_wait_kmcnt 0x0
	s_add_nc_u64 s[4:5], s[12:13], s[4:5]
	s_add_nc_u64 s[4:5], s[4:5], s[6:7]
	s_lshl_b64 s[6:7], s[2:3], 2
	global_load_b32 v34, v4, s[4:5] scale_offset
	s_wait_xcnt 0x0
	s_add_nc_u64 s[4:5], s[4:5], s[6:7]
	global_load_b32 v22, v4, s[4:5] scale_offset
	s_wait_loadcnt 0x1
	v_sub_nc_u32_e32 v0, v4, v34
	s_wait_loadcnt 0x0
	s_delay_alu instid0(VALU_DEP_1)
	v_cmp_lt_i32_e32 vcc_lo, v0, v22
	s_and_b32 exec_lo, exec_lo, vcc_lo
	s_cbranch_execz .LBB47_198
; %bb.2:
	v_mul_lo_u32 v24, v4, s2
	s_mul_i32 s4, s0, 10
	s_lshl_b32 s6, s2, 3
	s_ashr_i32 s5, s4, 31
	s_mul_i32 s0, s0, s2
	s_lshl_b64 s[16:17], s[4:5], 3
	s_ashr_i32 s7, s6, 31
	s_lshl_b32 s22, s0, 1
	s_add_nc_u64 s[4:5], s[8:9], s[16:17]
	s_lshl_b64 s[18:19], s[6:7], 3
	s_ashr_i32 s23, s22, 31
	s_add_nc_u64 s[0:1], s[4:5], s[18:19]
	s_mov_b64 s[4:5], 0xffffffffffffffc8
	s_lshl_b64 s[6:7], s[22:23], 3
	s_mul_i32 s20, s2, s2
	s_mov_b32 s21, 0
	v_dual_ashrrev_i32 v25, 31, v24 :: v_dual_ashrrev_i32 v35, 31, v34
	s_mul_u64 s[4:5], s[2:3], s[4:5]
	s_add_nc_u64 s[24:25], s[10:11], s[6:7]
	s_lshl_b64 s[6:7], s[20:21], 3
	s_add_nc_u64 s[12:13], s[0:1], s[4:5]
	s_add_nc_u64 s[4:5], s[24:25], s[6:7]
	v_dual_ashrrev_i32 v5, 31, v4 :: v_dual_add_nc_u32 v14, -1, v22
	s_lshl_b64 s[2:3], s[2:3], 6
	v_lshl_add_u64 v[8:9], v[24:25], 3, s[4:5]
	v_ashrrev_i32_e32 v1, 31, v0
	s_add_nc_u64 s[2:3], s[12:13], s[2:3]
	v_lshl_add_u64 v[12:13], v[34:35], 3, s[0:1]
	v_lshl_add_u64 v[2:3], v[4:5], 3, s[2:3]
	s_mov_b32 s0, exec_lo
	v_lshl_add_u64 v[10:11], v[0:1], 3, v[8:9]
	global_load_b64 v[6:7], v[2:3], off
	global_load_b64 v[16:17], v[10:11], off
                                        ; implicit-def: $vgpr2_vgpr3
	s_wait_xcnt 0x0
	v_cmpx_ne_u32_e64 v0, v14
	s_xor_b32 s24, exec_lo, s0
	s_cbranch_execz .LBB47_126
; %bb.3:
	global_load_b64 v[38:39], v[10:11], off offset:8
	s_mov_b32 s0, exec_lo
	s_wait_loadcnt 0x0
	v_add_f64_e32 v[2:3], v[16:17], v[38:39]
	s_delay_alu instid0(VALU_DEP_1)
	v_mul_f64_e32 v[20:21], 0.5, v[2:3]
	v_mov_b64_e32 v[2:3], 0
	v_cmpx_lt_i32_e32 0, v0
	s_cbranch_execz .LBB47_7
; %bb.4:
	v_mov_b64_e32 v[2:3], 0
	v_mov_b64_e32 v[18:19], v[12:13]
	v_mov_b64_e32 v[22:23], v[8:9]
	v_mov_b32_e32 v15, v0
	s_mov_b32 s1, 0
.LBB47_5:                               ; =>This Inner Loop Header: Depth=1
	global_load_b64 v[26:27], v[22:23], off
	global_load_b64 v[28:29], v[18:19], off
	s_wait_xcnt 0x1
	v_add_nc_u64_e32 v[22:23], 8, v[22:23]
	s_wait_xcnt 0x0
	v_add_nc_u64_e32 v[18:19], 8, v[18:19]
	s_wait_loadcnt 0x1
	v_dual_add_f64 v[26:27], v[26:27], -v[20:21] :: v_dual_add_nc_u32 v15, -1, v15
	s_wait_loadcnt 0x0
	s_delay_alu instid0(VALU_DEP_1) | instskip(SKIP_1) | instid1(VALU_DEP_2)
	v_div_scale_f64 v[30:31], null, v[26:27], v[26:27], v[28:29]
	v_div_scale_f64 v[40:41], vcc_lo, v[28:29], v[26:27], v[28:29]
	v_rcp_f64_e32 v[32:33], v[30:31]
	v_nop
	s_delay_alu instid0(TRANS32_DEP_1) | instskip(NEXT) | instid1(VALU_DEP_1)
	v_fma_f64 v[36:37], -v[30:31], v[32:33], 1.0
	v_fmac_f64_e32 v[32:33], v[32:33], v[36:37]
	s_delay_alu instid0(VALU_DEP_1) | instskip(NEXT) | instid1(VALU_DEP_1)
	v_fma_f64 v[36:37], -v[30:31], v[32:33], 1.0
	v_fmac_f64_e32 v[32:33], v[32:33], v[36:37]
	s_delay_alu instid0(VALU_DEP_1) | instskip(NEXT) | instid1(VALU_DEP_1)
	v_mul_f64_e32 v[36:37], v[40:41], v[32:33]
	v_fma_f64 v[30:31], -v[30:31], v[36:37], v[40:41]
	s_delay_alu instid0(VALU_DEP_1) | instskip(SKIP_2) | instid1(VALU_DEP_2)
	v_div_fmas_f64 v[30:31], v[30:31], v[32:33], v[36:37]
	v_cmp_eq_u32_e32 vcc_lo, 0, v15
	s_or_b32 s1, vcc_lo, s1
	v_div_fixup_f64 v[26:27], v[30:31], v[26:27], v[28:29]
	s_delay_alu instid0(VALU_DEP_1)
	v_fmac_f64_e32 v[2:3], v[28:29], v[26:27]
	s_and_not1_b32 exec_lo, exec_lo, s1
	s_cbranch_execnz .LBB47_5
; %bb.6:
	s_or_b32 exec_lo, exec_lo, s1
.LBB47_7:
	s_delay_alu instid0(SALU_CYCLE_1) | instskip(SKIP_4) | instid1(VALU_DEP_1)
	s_or_b32 exec_lo, exec_lo, s0
	v_mov_b64_e32 v[26:27], 0
	v_lshlrev_b64_e32 v[36:37], 3, v[24:25]
	v_dual_add_nc_u32 v18, 1, v0 :: v_dual_ashrrev_i32 v15, 31, v14
	s_mov_b32 s0, exec_lo
	v_cmpx_gt_i32_e64 v14, v18
	s_cbranch_execz .LBB47_11
; %bb.8:
	s_delay_alu instid0(VALU_DEP_2)
	v_lshlrev_b64_e32 v[22:23], 3, v[14:15]
	s_add_nc_u64 s[2:3], s[18:19], s[16:17]
	v_lshl_add_u64 v[24:25], s[22:23], 3, v[36:37]
	v_lshl_add_u64 v[26:27], v[34:35], 3, s[2:3]
	s_add_nc_u64 s[2:3], s[10:11], s[6:7]
	v_mov_b32_e32 v19, v14
	s_mov_b32 s1, 0
	v_add_nc_u64_e32 v[24:25], v[24:25], v[22:23]
	v_add_nc_u64_e32 v[26:27], v[26:27], v[22:23]
	s_delay_alu instid0(VALU_DEP_2) | instskip(NEXT) | instid1(VALU_DEP_2)
	v_add_nc_u64_e32 v[22:23], s[2:3], v[24:25]
	v_add_nc_u64_e32 v[24:25], s[8:9], v[26:27]
	v_mov_b64_e32 v[26:27], 0
.LBB47_9:                               ; =>This Inner Loop Header: Depth=1
	global_load_b64 v[28:29], v[22:23], off
	global_load_b64 v[30:31], v[24:25], off
	s_wait_xcnt 0x1
	v_add_nc_u64_e32 v[22:23], -8, v[22:23]
	s_wait_xcnt 0x0
	v_add_nc_u64_e32 v[24:25], -8, v[24:25]
	s_wait_loadcnt 0x1
	v_dual_add_f64 v[28:29], v[28:29], -v[20:21] :: v_dual_add_nc_u32 v19, -1, v19
	s_wait_loadcnt 0x0
	s_delay_alu instid0(VALU_DEP_1) | instskip(SKIP_1) | instid1(VALU_DEP_2)
	v_div_scale_f64 v[32:33], null, v[28:29], v[28:29], v[30:31]
	v_div_scale_f64 v[44:45], vcc_lo, v[30:31], v[28:29], v[30:31]
	v_rcp_f64_e32 v[40:41], v[32:33]
	v_nop
	s_delay_alu instid0(TRANS32_DEP_1) | instskip(NEXT) | instid1(VALU_DEP_1)
	v_fma_f64 v[42:43], -v[32:33], v[40:41], 1.0
	v_fmac_f64_e32 v[40:41], v[40:41], v[42:43]
	s_delay_alu instid0(VALU_DEP_1) | instskip(NEXT) | instid1(VALU_DEP_1)
	v_fma_f64 v[42:43], -v[32:33], v[40:41], 1.0
	v_fmac_f64_e32 v[40:41], v[40:41], v[42:43]
	s_delay_alu instid0(VALU_DEP_1) | instskip(NEXT) | instid1(VALU_DEP_1)
	v_mul_f64_e32 v[42:43], v[44:45], v[40:41]
	v_fma_f64 v[32:33], -v[32:33], v[42:43], v[44:45]
	s_delay_alu instid0(VALU_DEP_1) | instskip(SKIP_2) | instid1(VALU_DEP_2)
	v_div_fmas_f64 v[32:33], v[32:33], v[40:41], v[42:43]
	v_cmp_le_i32_e32 vcc_lo, v19, v18
	s_or_b32 s1, vcc_lo, s1
	v_div_fixup_f64 v[28:29], v[32:33], v[28:29], v[30:31]
	s_delay_alu instid0(VALU_DEP_1)
	v_fmac_f64_e32 v[26:27], v[30:31], v[28:29]
	s_and_not1_b32 exec_lo, exec_lo, s1
	s_cbranch_execnz .LBB47_9
; %bb.10:
	s_or_b32 exec_lo, exec_lo, s1
.LBB47_11:
	s_delay_alu instid0(SALU_CYCLE_1)
	s_or_b32 exec_lo, exec_lo, s0
	v_lshl_add_u64 v[20:21], v[0:1], 3, v[12:13]
	v_and_b32_e32 v25, 0x7fffffff, v7
	v_add_f64_e64 v[22:23], v[38:39], -v[16:17]
	global_load_b128 v[30:33], v[20:21], off
	s_wait_loadcnt 0x0
	v_mul_f64_e32 v[30:31], v[30:31], v[30:31]
	s_delay_alu instid0(VALU_DEP_1) | instskip(NEXT) | instid1(VALU_DEP_1)
	v_dual_fma_f64 v[40:41], v[32:33], v[32:33], -v[30:31] :: v_dual_mov_b32 v24, v6
	v_div_scale_f64 v[28:29], null, v[24:25], v[24:25], 1.0
	v_div_scale_f64 v[24:25], vcc_lo, 1.0, v[24:25], 1.0
	v_mul_f64_e32 v[32:33], v[32:33], v[32:33]
	s_delay_alu instid0(VALU_DEP_4) | instskip(NEXT) | instid1(VALU_DEP_4)
	v_add_f64_e32 v[40:41], v[40:41], v[40:41]
	v_rcp_f64_e32 v[42:43], v[28:29]
	s_delay_alu instid0(VALU_DEP_1) | instskip(NEXT) | instid1(TRANS32_DEP_1)
	v_div_scale_f64 v[44:45], null, v[22:23], v[22:23], v[40:41]
	v_fma_f64 v[46:47], -v[28:29], v[42:43], 1.0
	s_delay_alu instid0(VALU_DEP_2) | instskip(NEXT) | instid1(VALU_DEP_1)
	v_rcp_f64_e32 v[48:49], v[44:45]
	v_fmac_f64_e32 v[42:43], v[42:43], v[46:47]
	s_delay_alu instid0(TRANS32_DEP_1) | instskip(NEXT) | instid1(VALU_DEP_2)
	v_fma_f64 v[50:51], -v[44:45], v[48:49], 1.0
	v_fma_f64 v[46:47], -v[28:29], v[42:43], 1.0
	s_delay_alu instid0(VALU_DEP_2) | instskip(NEXT) | instid1(VALU_DEP_2)
	v_fmac_f64_e32 v[48:49], v[48:49], v[50:51]
	v_fmac_f64_e32 v[42:43], v[42:43], v[46:47]
	s_delay_alu instid0(VALU_DEP_2) | instskip(NEXT) | instid1(VALU_DEP_2)
	v_fma_f64 v[50:51], -v[44:45], v[48:49], 1.0
	v_mul_f64_e32 v[46:47], v[24:25], v[42:43]
	s_delay_alu instid0(VALU_DEP_2) | instskip(NEXT) | instid1(VALU_DEP_2)
	v_fmac_f64_e32 v[48:49], v[48:49], v[50:51]
	v_fma_f64 v[24:25], -v[28:29], v[46:47], v[24:25]
	v_div_scale_f64 v[28:29], s0, v[40:41], v[22:23], v[40:41]
	s_delay_alu instid0(VALU_DEP_2) | instskip(NEXT) | instid1(VALU_DEP_2)
	v_div_fmas_f64 v[24:25], v[24:25], v[42:43], v[46:47]
	v_mul_f64_e32 v[42:43], v[28:29], v[48:49]
	s_mov_b32 vcc_lo, s0
	s_delay_alu instid0(VALU_DEP_2) | instskip(NEXT) | instid1(VALU_DEP_2)
	v_div_fixup_f64 v[24:25], v[24:25], |v[6:7]|, 1.0
	v_fma_f64 v[28:29], -v[44:45], v[42:43], v[28:29]
                                        ; implicit-def: $vgpr44_vgpr45
	s_delay_alu instid0(VALU_DEP_2) | instskip(NEXT) | instid1(VALU_DEP_2)
	v_add_f64_e32 v[2:3], v[24:25], v[2:3]
	v_div_fmas_f64 v[42:43], v[28:29], v[48:49], v[42:43]
	s_delay_alu instid0(VALU_DEP_2) | instskip(NEXT) | instid1(VALU_DEP_2)
	v_add_f64_e32 v[28:29], v[2:3], v[26:27]
	v_div_fixup_f64 v[2:3], v[42:43], v[22:23], v[40:41]
                                        ; implicit-def: $vgpr42_vgpr43
	s_delay_alu instid0(VALU_DEP_2) | instskip(NEXT) | instid1(VALU_DEP_2)
	v_mul_f64_e32 v[46:47], v[22:23], v[28:29]
	v_add_f64_e32 v[2:3], v[28:29], v[2:3]
	s_delay_alu instid0(VALU_DEP_1) | instskip(SKIP_2) | instid1(SALU_CYCLE_1)
	v_cmp_lt_f64_e64 s3, 0, v[2:3]
	v_cmp_nlt_f64_e64 s0, 0, v[2:3]
                                        ; implicit-def: $vgpr2_vgpr3
	s_and_saveexec_b32 s1, s0
	s_xor_b32 s2, exec_lo, s1
	s_cbranch_execz .LBB47_17
; %bb.12:
	v_mul_f64_e32 v[0:1], v[22:23], v[32:33]
	v_add_f64_e64 v[2:3], v[46:47], -v[30:31]
                                        ; implicit-def: $vgpr42_vgpr43
	s_delay_alu instid0(VALU_DEP_2) | instskip(NEXT) | instid1(VALU_DEP_2)
	v_mul_f64_e32 v[26:27], 4.0, v[0:1]
	v_add_f64_e64 v[2:3], v[2:3], -v[32:33]
	s_delay_alu instid0(VALU_DEP_2) | instskip(NEXT) | instid1(VALU_DEP_1)
	v_mul_f64_e32 v[26:27], v[28:29], v[26:27]
	v_fmac_f64_e32 v[26:27], v[2:3], v[2:3]
	s_delay_alu instid0(VALU_DEP_1) | instskip(NEXT) | instid1(VALU_DEP_1)
	v_cmp_gt_f64_e64 s1, 0x10000000, |v[26:27]|
	v_cndmask_b32_e64 v19, 0, 0x100, s1
	s_delay_alu instid0(VALU_DEP_1) | instskip(SKIP_2) | instid1(VALU_DEP_3)
	v_ldexp_f64 v[26:27], |v[26:27]|, v19
	v_cndmask_b32_e64 v19, 0, 0xffffff80, s1
	v_cmp_ngt_f64_e64 s1, 0, v[2:3]
	v_rsq_f64_e32 v[30:31], v[26:27]
	v_cmp_class_f64_e64 vcc_lo, v[26:27], 0x260
	s_delay_alu instid0(TRANS32_DEP_1) | instskip(SKIP_1) | instid1(VALU_DEP_1)
	v_mul_f64_e32 v[32:33], v[26:27], v[30:31]
	v_mul_f64_e32 v[30:31], 0.5, v[30:31]
	v_fma_f64 v[40:41], -v[30:31], v[32:33], 0.5
	s_delay_alu instid0(VALU_DEP_1) | instskip(SKIP_1) | instid1(VALU_DEP_2)
	v_fmac_f64_e32 v[32:33], v[32:33], v[40:41]
	v_fmac_f64_e32 v[30:31], v[30:31], v[40:41]
	v_fma_f64 v[40:41], -v[32:33], v[32:33], v[26:27]
	s_delay_alu instid0(VALU_DEP_1) | instskip(NEXT) | instid1(VALU_DEP_1)
	v_fmac_f64_e32 v[32:33], v[40:41], v[30:31]
	v_fma_f64 v[40:41], -v[32:33], v[32:33], v[26:27]
	s_delay_alu instid0(VALU_DEP_1) | instskip(NEXT) | instid1(VALU_DEP_1)
	v_fmac_f64_e32 v[32:33], v[40:41], v[30:31]
	v_ldexp_f64 v[30:31], v[32:33], v19
	s_delay_alu instid0(VALU_DEP_1) | instskip(SKIP_1) | instid1(SALU_CYCLE_1)
	v_dual_cndmask_b32 v27, v31, v27 :: v_dual_cndmask_b32 v26, v30, v26
	s_and_saveexec_b32 s4, s1
	s_xor_b32 s1, exec_lo, s4
	s_cbranch_execz .LBB47_14
; %bb.13:
	s_delay_alu instid0(VALU_DEP_1) | instskip(SKIP_1) | instid1(VALU_DEP_1)
	v_add_f64_e32 v[0:1], v[2:3], v[26:27]
	v_add_f64_e32 v[2:3], v[28:29], v[28:29]
	v_div_scale_f64 v[26:27], null, v[2:3], v[2:3], -v[0:1]
	s_delay_alu instid0(VALU_DEP_1) | instskip(SKIP_1) | instid1(TRANS32_DEP_1)
	v_rcp_f64_e32 v[28:29], v[26:27]
	v_nop
	v_fma_f64 v[30:31], -v[26:27], v[28:29], 1.0
	s_delay_alu instid0(VALU_DEP_1) | instskip(NEXT) | instid1(VALU_DEP_1)
	v_fmac_f64_e32 v[28:29], v[28:29], v[30:31]
	v_fma_f64 v[30:31], -v[26:27], v[28:29], 1.0
	s_delay_alu instid0(VALU_DEP_1) | instskip(SKIP_1) | instid1(VALU_DEP_1)
	v_fmac_f64_e32 v[28:29], v[28:29], v[30:31]
	v_div_scale_f64 v[30:31], vcc_lo, -v[0:1], v[2:3], -v[0:1]
	v_mul_f64_e32 v[32:33], v[30:31], v[28:29]
	s_delay_alu instid0(VALU_DEP_1) | instskip(NEXT) | instid1(VALU_DEP_1)
	v_fma_f64 v[26:27], -v[26:27], v[32:33], v[30:31]
	v_div_fmas_f64 v[26:27], v[26:27], v[28:29], v[32:33]
	s_delay_alu instid0(VALU_DEP_1)
	v_div_fixup_f64 v[42:43], v[26:27], v[2:3], -v[0:1]
                                        ; implicit-def: $vgpr0_vgpr1
                                        ; implicit-def: $vgpr26_vgpr27
                                        ; implicit-def: $vgpr2_vgpr3
.LBB47_14:
	s_and_not1_saveexec_b32 s1, s1
	s_cbranch_execz .LBB47_16
; %bb.15:
	v_add_f64_e32 v[0:1], v[0:1], v[0:1]
	v_add_f64_e64 v[2:3], v[2:3], -v[26:27]
	s_delay_alu instid0(VALU_DEP_1) | instskip(NEXT) | instid1(VALU_DEP_1)
	v_div_scale_f64 v[26:27], null, v[2:3], v[2:3], v[0:1]
	v_rcp_f64_e32 v[28:29], v[26:27]
	v_nop
	s_delay_alu instid0(TRANS32_DEP_1) | instskip(NEXT) | instid1(VALU_DEP_1)
	v_fma_f64 v[30:31], -v[26:27], v[28:29], 1.0
	v_fmac_f64_e32 v[28:29], v[28:29], v[30:31]
	s_delay_alu instid0(VALU_DEP_1) | instskip(NEXT) | instid1(VALU_DEP_1)
	v_fma_f64 v[30:31], -v[26:27], v[28:29], 1.0
	v_fmac_f64_e32 v[28:29], v[28:29], v[30:31]
	v_div_scale_f64 v[30:31], vcc_lo, v[0:1], v[2:3], v[0:1]
	s_delay_alu instid0(VALU_DEP_1) | instskip(NEXT) | instid1(VALU_DEP_1)
	v_mul_f64_e32 v[32:33], v[30:31], v[28:29]
	v_fma_f64 v[26:27], -v[26:27], v[32:33], v[30:31]
	s_delay_alu instid0(VALU_DEP_1) | instskip(NEXT) | instid1(VALU_DEP_1)
	v_div_fmas_f64 v[26:27], v[26:27], v[28:29], v[32:33]
	v_div_fixup_f64 v[42:43], v[26:27], v[2:3], v[0:1]
.LBB47_16:
	s_or_b32 exec_lo, exec_lo, s1
	v_mul_f64_e32 v[44:45], -0.5, v[22:23]
	s_delay_alu instid0(VALU_DEP_2)
	v_add_f64_e32 v[2:3], v[38:39], v[42:43]
                                        ; implicit-def: $vgpr46_vgpr47
                                        ; implicit-def: $vgpr30_vgpr31
                                        ; implicit-def: $vgpr32_vgpr33
                                        ; implicit-def: $vgpr28_vgpr29
                                        ; implicit-def: $vgpr0
.LBB47_17:
	s_or_saveexec_b32 s2, s2
	v_mov_b64_e32 v[40:41], 0
	v_mov_b64_e32 v[26:27], v[38:39]
	s_xor_b32 exec_lo, exec_lo, s2
	s_cbranch_execz .LBB47_23
; %bb.18:
	v_mul_f64_e32 v[2:3], v[22:23], v[30:31]
	v_add_f64_e32 v[18:19], v[46:47], v[30:31]
                                        ; implicit-def: $vgpr42_vgpr43
	s_delay_alu instid0(VALU_DEP_2) | instskip(NEXT) | instid1(VALU_DEP_2)
	v_mul_f64_e32 v[26:27], -4.0, v[2:3]
	v_add_f64_e32 v[18:19], v[18:19], v[32:33]
	s_delay_alu instid0(VALU_DEP_2) | instskip(NEXT) | instid1(VALU_DEP_1)
	v_mul_f64_e32 v[26:27], v[28:29], v[26:27]
	v_fmac_f64_e32 v[26:27], v[18:19], v[18:19]
	s_delay_alu instid0(VALU_DEP_1) | instskip(NEXT) | instid1(VALU_DEP_1)
	v_cmp_gt_f64_e64 s1, 0x10000000, |v[26:27]|
	v_cndmask_b32_e64 v1, 0, 0x100, s1
	s_delay_alu instid0(VALU_DEP_1) | instskip(SKIP_2) | instid1(VALU_DEP_3)
	v_ldexp_f64 v[26:27], |v[26:27]|, v1
	v_cndmask_b32_e64 v1, 0, 0xffffff80, s1
	v_cmp_nlt_f64_e64 s1, 0, v[18:19]
	v_rsq_f64_e32 v[30:31], v[26:27]
	v_cmp_class_f64_e64 vcc_lo, v[26:27], 0x260
	s_delay_alu instid0(TRANS32_DEP_1) | instskip(SKIP_1) | instid1(VALU_DEP_1)
	v_mul_f64_e32 v[32:33], v[26:27], v[30:31]
	v_mul_f64_e32 v[30:31], 0.5, v[30:31]
	v_fma_f64 v[40:41], -v[30:31], v[32:33], 0.5
	s_delay_alu instid0(VALU_DEP_1) | instskip(SKIP_1) | instid1(VALU_DEP_2)
	v_fmac_f64_e32 v[32:33], v[32:33], v[40:41]
	v_fmac_f64_e32 v[30:31], v[30:31], v[40:41]
	v_fma_f64 v[40:41], -v[32:33], v[32:33], v[26:27]
	s_delay_alu instid0(VALU_DEP_1) | instskip(NEXT) | instid1(VALU_DEP_1)
	v_fmac_f64_e32 v[32:33], v[40:41], v[30:31]
	v_fma_f64 v[40:41], -v[32:33], v[32:33], v[26:27]
	s_delay_alu instid0(VALU_DEP_1) | instskip(NEXT) | instid1(VALU_DEP_1)
	v_fmac_f64_e32 v[32:33], v[40:41], v[30:31]
	v_ldexp_f64 v[30:31], v[32:33], v1
	s_delay_alu instid0(VALU_DEP_1) | instskip(SKIP_1) | instid1(SALU_CYCLE_1)
	v_dual_cndmask_b32 v27, v31, v27 :: v_dual_cndmask_b32 v26, v30, v26
	s_and_saveexec_b32 s4, s1
	s_xor_b32 s1, exec_lo, s4
	s_cbranch_execz .LBB47_20
; %bb.19:
	s_delay_alu instid0(VALU_DEP_1) | instskip(SKIP_1) | instid1(VALU_DEP_1)
	v_add_f64_e64 v[2:3], v[18:19], -v[26:27]
	v_add_f64_e32 v[18:19], v[28:29], v[28:29]
	v_div_scale_f64 v[26:27], null, v[18:19], v[18:19], v[2:3]
	s_delay_alu instid0(VALU_DEP_1) | instskip(SKIP_1) | instid1(TRANS32_DEP_1)
	v_rcp_f64_e32 v[28:29], v[26:27]
	v_nop
	v_fma_f64 v[30:31], -v[26:27], v[28:29], 1.0
	s_delay_alu instid0(VALU_DEP_1) | instskip(NEXT) | instid1(VALU_DEP_1)
	v_fmac_f64_e32 v[28:29], v[28:29], v[30:31]
	v_fma_f64 v[30:31], -v[26:27], v[28:29], 1.0
	s_delay_alu instid0(VALU_DEP_1) | instskip(SKIP_1) | instid1(VALU_DEP_1)
	v_fmac_f64_e32 v[28:29], v[28:29], v[30:31]
	v_div_scale_f64 v[30:31], vcc_lo, v[2:3], v[18:19], v[2:3]
	v_mul_f64_e32 v[32:33], v[30:31], v[28:29]
	s_delay_alu instid0(VALU_DEP_1) | instskip(NEXT) | instid1(VALU_DEP_1)
	v_fma_f64 v[26:27], -v[26:27], v[32:33], v[30:31]
	v_div_fmas_f64 v[26:27], v[26:27], v[28:29], v[32:33]
	s_delay_alu instid0(VALU_DEP_1)
	v_div_fixup_f64 v[42:43], v[26:27], v[18:19], v[2:3]
                                        ; implicit-def: $vgpr2_vgpr3
                                        ; implicit-def: $vgpr18_vgpr19
                                        ; implicit-def: $vgpr26_vgpr27
.LBB47_20:
	s_and_not1_saveexec_b32 s1, s1
	s_cbranch_execz .LBB47_22
; %bb.21:
	v_add_f64_e32 v[2:3], v[2:3], v[2:3]
	v_add_f64_e32 v[18:19], v[18:19], v[26:27]
	s_delay_alu instid0(VALU_DEP_1) | instskip(NEXT) | instid1(VALU_DEP_1)
	v_div_scale_f64 v[26:27], null, v[18:19], v[18:19], v[2:3]
	v_rcp_f64_e32 v[28:29], v[26:27]
	v_nop
	s_delay_alu instid0(TRANS32_DEP_1) | instskip(NEXT) | instid1(VALU_DEP_1)
	v_fma_f64 v[30:31], -v[26:27], v[28:29], 1.0
	v_fmac_f64_e32 v[28:29], v[28:29], v[30:31]
	s_delay_alu instid0(VALU_DEP_1) | instskip(NEXT) | instid1(VALU_DEP_1)
	v_fma_f64 v[30:31], -v[26:27], v[28:29], 1.0
	v_fmac_f64_e32 v[28:29], v[28:29], v[30:31]
	v_div_scale_f64 v[30:31], vcc_lo, v[2:3], v[18:19], v[2:3]
	s_delay_alu instid0(VALU_DEP_1) | instskip(NEXT) | instid1(VALU_DEP_1)
	v_mul_f64_e32 v[32:33], v[30:31], v[28:29]
	v_fma_f64 v[26:27], -v[26:27], v[32:33], v[30:31]
	s_delay_alu instid0(VALU_DEP_1) | instskip(NEXT) | instid1(VALU_DEP_1)
	v_div_fmas_f64 v[26:27], v[26:27], v[28:29], v[32:33]
	v_div_fixup_f64 v[42:43], v[26:27], v[18:19], v[2:3]
.LBB47_22:
	s_or_b32 exec_lo, exec_lo, s1
	v_dual_mul_f64 v[40:41], 0.5, v[22:23] :: v_dual_mov_b32 v18, v0
	s_delay_alu instid0(VALU_DEP_2)
	v_add_f64_e32 v[2:3], v[16:17], v[42:43]
	v_mov_b64_e32 v[44:45], 0
	v_mov_b64_e32 v[26:27], v[16:17]
.LBB47_23:
	s_or_b32 exec_lo, exec_lo, s2
	s_delay_alu instid0(SALU_CYCLE_1)
	s_mov_b32 s1, exec_lo
	v_cmpx_lt_i32_e32 -1, v18
	s_cbranch_execz .LBB47_26
; %bb.24:
	v_mov_b64_e32 v[0:1], v[8:9]
	v_add_nc_u32_e32 v19, 1, v18
	s_mov_b32 s2, 0
.LBB47_25:                              ; =>This Inner Loop Header: Depth=1
	global_load_b64 v[28:29], v[0:1], off
	v_add_nc_u32_e32 v19, -1, v19
	s_delay_alu instid0(VALU_DEP_1)
	v_cmp_eq_u32_e32 vcc_lo, 0, v19
	s_or_b32 s2, vcc_lo, s2
	s_wait_loadcnt 0x0
	v_add_f64_e64 v[28:29], v[28:29], -v[26:27]
	global_store_b64 v[0:1], v[28:29], off
	s_wait_xcnt 0x0
	v_add_nc_u64_e32 v[0:1], 8, v[0:1]
	s_and_not1_b32 exec_lo, exec_lo, s2
	s_cbranch_execnz .LBB47_25
.LBB47_26:
	s_or_b32 exec_lo, exec_lo, s1
	v_cmp_le_i32_e64 s4, v14, v18
	v_cmp_gt_i32_e64 s1, v14, v18
	s_and_saveexec_b32 s2, s1
	s_cbranch_execz .LBB47_29
; %bb.27:
	v_lshl_add_u64 v[0:1], s[22:23], 3, v[36:37]
	s_add_nc_u64 s[26:27], s[10:11], s[6:7]
	v_mov_b32_e32 v19, v14
	s_mov_b32 s5, 0
	s_delay_alu instid0(VALU_DEP_2) | instskip(NEXT) | instid1(VALU_DEP_1)
	v_lshl_add_u64 v[0:1], v[14:15], 3, v[0:1]
	v_add_nc_u64_e32 v[0:1], s[26:27], v[0:1]
.LBB47_28:                              ; =>This Inner Loop Header: Depth=1
	global_load_b64 v[28:29], v[0:1], off
	v_add_nc_u32_e32 v19, -1, v19
	s_delay_alu instid0(VALU_DEP_1)
	v_cmp_le_i32_e32 vcc_lo, v19, v18
	s_or_b32 s5, vcc_lo, s5
	s_wait_loadcnt 0x0
	v_add_f64_e64 v[28:29], v[28:29], -v[26:27]
	global_store_b64 v[0:1], v[28:29], off
	s_wait_xcnt 0x0
	v_add_nc_u64_e32 v[0:1], -8, v[0:1]
	s_and_not1_b32 exec_lo, exec_lo, s5
	s_cbranch_execnz .LBB47_28
.LBB47_29:
	s_or_b32 exec_lo, exec_lo, s2
	v_ashrrev_i32_e32 v19, 31, v18
	v_mov_b64_e32 v[52:53], 0
	v_mov_b64_e32 v[50:51], 0
	v_cmp_lt_i32_e64 s2, 0, v18
	s_mov_b32 s25, 0
	v_lshl_add_u64 v[28:29], v[18:19], 3, v[8:9]
	global_load_b64 v[0:1], v[28:29], off
	s_wait_loadcnt 0x0
	v_add_f64_e64 v[30:31], v[0:1], -v[42:43]
	v_mov_b64_e32 v[0:1], 0
	global_store_b64 v[28:29], v[30:31], off
	s_wait_xcnt 0x0
	s_and_saveexec_b32 s5, s2
	s_cbranch_execz .LBB47_33
; %bb.30:
	v_mov_b64_e32 v[0:1], 0
	v_mov_b64_e32 v[30:31], v[12:13]
	;; [unrolled: 1-line block ×5, first 2 shown]
	v_mov_b32_e32 v46, v18
.LBB47_31:                              ; =>This Inner Loop Header: Depth=1
	global_load_b64 v[48:49], v[32:33], off
	v_add_nc_u32_e32 v46, -1, v46
	s_wait_loadcnt 0x0
	v_add_f64_e64 v[48:49], v[48:49], -v[42:43]
	global_store_b64 v[32:33], v[48:49], off
	global_load_b64 v[54:55], v[30:31], off
	s_wait_xcnt 0x1
	v_add_nc_u64_e32 v[32:33], 8, v[32:33]
	s_wait_xcnt 0x0
	v_add_nc_u64_e32 v[30:31], 8, v[30:31]
	s_wait_loadcnt 0x0
	v_div_scale_f64 v[56:57], null, v[48:49], v[48:49], v[54:55]
	v_div_scale_f64 v[62:63], vcc_lo, v[54:55], v[48:49], v[54:55]
	s_delay_alu instid0(VALU_DEP_2) | instskip(SKIP_1) | instid1(TRANS32_DEP_1)
	v_rcp_f64_e32 v[58:59], v[56:57]
	v_nop
	v_fma_f64 v[60:61], -v[56:57], v[58:59], 1.0
	s_delay_alu instid0(VALU_DEP_1) | instskip(NEXT) | instid1(VALU_DEP_1)
	v_fmac_f64_e32 v[58:59], v[58:59], v[60:61]
	v_fma_f64 v[60:61], -v[56:57], v[58:59], 1.0
	s_delay_alu instid0(VALU_DEP_1) | instskip(NEXT) | instid1(VALU_DEP_1)
	v_fmac_f64_e32 v[58:59], v[58:59], v[60:61]
	v_mul_f64_e32 v[60:61], v[62:63], v[58:59]
	s_delay_alu instid0(VALU_DEP_1) | instskip(NEXT) | instid1(VALU_DEP_1)
	v_fma_f64 v[56:57], -v[56:57], v[60:61], v[62:63]
	v_div_fmas_f64 v[56:57], v[56:57], v[58:59], v[60:61]
	v_cmp_eq_u32_e32 vcc_lo, 0, v46
	s_or_b32 s25, vcc_lo, s25
	s_delay_alu instid0(VALU_DEP_2) | instskip(NEXT) | instid1(VALU_DEP_1)
	v_div_fixup_f64 v[48:49], v[56:57], v[48:49], v[54:55]
	v_fmac_f64_e32 v[50:51], v[54:55], v[48:49]
	v_fmac_f64_e32 v[0:1], v[48:49], v[48:49]
	s_delay_alu instid0(VALU_DEP_2)
	v_add_f64_e32 v[52:53], v[52:53], v[50:51]
	s_and_not1_b32 exec_lo, exec_lo, s25
	s_cbranch_execnz .LBB47_31
; %bb.32:
	s_or_b32 exec_lo, exec_lo, s25
	s_delay_alu instid0(VALU_DEP_1)
	v_and_b32_e32 v53, 0x7fffffff, v53
.LBB47_33:
	s_or_b32 exec_lo, exec_lo, s5
	v_mov_b64_e32 v[48:49], 0
	v_mov_b64_e32 v[56:57], 0
	s_and_saveexec_b32 s5, s1
	s_cbranch_execz .LBB47_37
; %bb.34:
	v_lshlrev_b64_e32 v[30:31], 3, v[14:15]
	s_add_nc_u64 s[26:27], s[18:19], s[16:17]
	v_lshl_add_u64 v[32:33], s[22:23], 3, v[36:37]
	v_lshl_add_u64 v[46:47], v[34:35], 3, s[26:27]
	s_add_nc_u64 s[6:7], s[10:11], s[6:7]
	v_mov_b64_e32 v[48:49], 0
	v_mov_b64_e32 v[56:57], 0
	v_add_nc_u64_e32 v[32:33], v[32:33], v[30:31]
	v_add_nc_u64_e32 v[46:47], v[46:47], v[30:31]
	s_delay_alu instid0(VALU_DEP_2) | instskip(NEXT) | instid1(VALU_DEP_2)
	v_add_nc_u64_e32 v[30:31], s[6:7], v[32:33]
	v_add_nc_u64_e32 v[32:33], s[8:9], v[46:47]
	v_mov_b32_e32 v46, v14
	s_mov_b32 s6, 0
.LBB47_35:                              ; =>This Inner Loop Header: Depth=1
	global_load_b64 v[54:55], v[30:31], off
	v_add_nc_u32_e32 v46, -1, v46
	s_wait_loadcnt 0x0
	v_add_f64_e64 v[54:55], v[54:55], -v[42:43]
	global_store_b64 v[30:31], v[54:55], off
	global_load_b64 v[58:59], v[32:33], off
	s_wait_xcnt 0x1
	v_add_nc_u64_e32 v[30:31], -8, v[30:31]
	s_wait_xcnt 0x0
	v_add_nc_u64_e32 v[32:33], -8, v[32:33]
	s_wait_loadcnt 0x0
	v_div_scale_f64 v[60:61], null, v[54:55], v[54:55], v[58:59]
	v_div_scale_f64 v[66:67], vcc_lo, v[58:59], v[54:55], v[58:59]
	s_delay_alu instid0(VALU_DEP_2) | instskip(SKIP_1) | instid1(TRANS32_DEP_1)
	v_rcp_f64_e32 v[62:63], v[60:61]
	v_nop
	v_fma_f64 v[64:65], -v[60:61], v[62:63], 1.0
	s_delay_alu instid0(VALU_DEP_1) | instskip(NEXT) | instid1(VALU_DEP_1)
	v_fmac_f64_e32 v[62:63], v[62:63], v[64:65]
	v_fma_f64 v[64:65], -v[60:61], v[62:63], 1.0
	s_delay_alu instid0(VALU_DEP_1) | instskip(NEXT) | instid1(VALU_DEP_1)
	v_fmac_f64_e32 v[62:63], v[62:63], v[64:65]
	v_mul_f64_e32 v[64:65], v[66:67], v[62:63]
	s_delay_alu instid0(VALU_DEP_1) | instskip(NEXT) | instid1(VALU_DEP_1)
	v_fma_f64 v[60:61], -v[60:61], v[64:65], v[66:67]
	v_div_fmas_f64 v[60:61], v[60:61], v[62:63], v[64:65]
	v_cmp_le_i32_e32 vcc_lo, v46, v18
	s_or_b32 s6, vcc_lo, s6
	s_delay_alu instid0(VALU_DEP_2) | instskip(NEXT) | instid1(VALU_DEP_1)
	v_div_fixup_f64 v[54:55], v[60:61], v[54:55], v[58:59]
	v_fmac_f64_e32 v[56:57], v[58:59], v[54:55]
	v_fmac_f64_e32 v[48:49], v[54:55], v[54:55]
	s_delay_alu instid0(VALU_DEP_2)
	v_add_f64_e32 v[52:53], v[52:53], v[56:57]
	s_and_not1_b32 exec_lo, exec_lo, s6
	s_cbranch_execnz .LBB47_35
; %bb.36:
	s_or_b32 exec_lo, exec_lo, s6
.LBB47_37:
	s_delay_alu instid0(SALU_CYCLE_1)
	s_or_b32 exec_lo, exec_lo, s5
	v_lshl_add_u64 v[30:31], v[18:19], 3, v[12:13]
	s_mov_b32 s7, exec_lo
	global_load_b64 v[46:47], v[28:29], off
	global_load_b64 v[58:59], v[30:31], off
	s_wait_loadcnt 0x0
	v_div_scale_f64 v[32:33], null, v[46:47], v[46:47], v[58:59]
	s_delay_alu instid0(VALU_DEP_1) | instskip(SKIP_1) | instid1(TRANS32_DEP_1)
	v_rcp_f64_e32 v[54:55], v[32:33]
	v_nop
	v_fma_f64 v[60:61], -v[32:33], v[54:55], 1.0
	s_delay_alu instid0(VALU_DEP_1) | instskip(NEXT) | instid1(VALU_DEP_1)
	v_fmac_f64_e32 v[54:55], v[54:55], v[60:61]
	v_fma_f64 v[60:61], -v[32:33], v[54:55], 1.0
	s_delay_alu instid0(VALU_DEP_1) | instskip(SKIP_1) | instid1(VALU_DEP_1)
	v_fmac_f64_e32 v[54:55], v[54:55], v[60:61]
	v_div_scale_f64 v[60:61], vcc_lo, v[58:59], v[46:47], v[58:59]
	v_mul_f64_e32 v[62:63], v[60:61], v[54:55]
	s_delay_alu instid0(VALU_DEP_1) | instskip(NEXT) | instid1(VALU_DEP_1)
	v_fma_f64 v[32:33], -v[32:33], v[62:63], v[60:61]
	v_div_fmas_f64 v[32:33], v[32:33], v[54:55], v[62:63]
	v_add_f64_e64 v[62:63], v[56:57], -v[50:51]
	v_add_f64_e32 v[54:55], v[0:1], v[48:49]
	v_add_f64_e32 v[50:51], v[24:25], v[50:51]
	s_delay_alu instid0(VALU_DEP_4) | instskip(SKIP_1) | instid1(VALU_DEP_3)
	v_div_fixup_f64 v[60:61], v[32:33], v[46:47], v[58:59]
	v_add_f64_e32 v[32:33], v[24:25], v[24:25]
	v_add_f64_e32 v[50:51], v[50:51], v[56:57]
	s_delay_alu instid0(VALU_DEP_3) | instskip(NEXT) | instid1(VALU_DEP_3)
	v_mul_f64_e32 v[0:1], v[58:59], v[60:61]
	v_fmamk_f64 v[62:63], v[62:63], 0x40200000, v[32:33]
	v_fma_f64 v[48:49], v[60:61], v[60:61], v[54:55]
	s_delay_alu instid0(VALU_DEP_4) | instskip(NEXT) | instid1(VALU_DEP_3)
	v_fmac_f64_e32 v[50:51], v[58:59], v[60:61]
	v_fma_f64 v[0:1], 0x40080000, |v[0:1]|, v[62:63]
	s_delay_alu instid0(VALU_DEP_1) | instskip(NEXT) | instid1(VALU_DEP_1)
	v_fma_f64 v[0:1], |v[42:43]|, v[48:49], v[0:1]
	v_add_f64_e32 v[0:1], v[52:53], v[0:1]
	s_delay_alu instid0(VALU_DEP_1) | instskip(SKIP_1) | instid1(VALU_DEP_1)
	v_mul_f64_e32 v[0:1], s[14:15], v[0:1]
	s_wait_xcnt 0x0
	v_cmpx_nle_f64_e64 |v[50:51]|, v[0:1]
	s_cbranch_execz .LBB47_125
; %bb.38:
	global_load_b128 v[0:3], v[10:11], off
                                        ; implicit-def: $vgpr58_vgpr59
	s_wait_xcnt 0x0
	s_and_saveexec_b32 s5, s0
	s_delay_alu instid0(SALU_CYCLE_1)
	s_xor_b32 s5, exec_lo, s5
	s_cbranch_execz .LBB47_40
; %bb.39:
	global_load_b64 v[52:53], v[20:21], off offset:8
	s_wait_loadcnt 0x0
	v_mul_f64_e32 v[56:57], v[22:23], v[52:53]
	s_delay_alu instid0(VALU_DEP_1) | instskip(NEXT) | instid1(VALU_DEP_1)
	v_mul_f64_e32 v[52:53], v[52:53], v[56:57]
	v_div_scale_f64 v[56:57], null, v[2:3], v[2:3], v[52:53]
	v_div_scale_f64 v[62:63], vcc_lo, v[52:53], v[2:3], v[52:53]
	s_delay_alu instid0(VALU_DEP_2) | instskip(SKIP_1) | instid1(TRANS32_DEP_1)
	v_rcp_f64_e32 v[58:59], v[56:57]
	v_nop
	v_fma_f64 v[60:61], -v[56:57], v[58:59], 1.0
	s_delay_alu instid0(VALU_DEP_1) | instskip(NEXT) | instid1(VALU_DEP_1)
	v_fmac_f64_e32 v[58:59], v[58:59], v[60:61]
	v_fma_f64 v[60:61], -v[56:57], v[58:59], 1.0
	s_delay_alu instid0(VALU_DEP_1) | instskip(NEXT) | instid1(VALU_DEP_1)
	v_fmac_f64_e32 v[58:59], v[58:59], v[60:61]
	v_mul_f64_e32 v[60:61], v[62:63], v[58:59]
	s_delay_alu instid0(VALU_DEP_1) | instskip(NEXT) | instid1(VALU_DEP_1)
	v_fma_f64 v[56:57], -v[56:57], v[60:61], v[62:63]
	v_div_fmas_f64 v[56:57], v[56:57], v[58:59], v[60:61]
	s_delay_alu instid0(VALU_DEP_1) | instskip(NEXT) | instid1(VALU_DEP_1)
	v_div_fixup_f64 v[52:53], v[56:57], v[2:3], v[52:53]
	v_div_scale_f64 v[56:57], null, v[2:3], v[2:3], v[52:53]
	s_delay_alu instid0(VALU_DEP_1) | instskip(SKIP_1) | instid1(TRANS32_DEP_1)
	v_rcp_f64_e32 v[58:59], v[56:57]
	v_nop
	v_fma_f64 v[60:61], -v[56:57], v[58:59], 1.0
	s_delay_alu instid0(VALU_DEP_1) | instskip(NEXT) | instid1(VALU_DEP_1)
	v_fmac_f64_e32 v[58:59], v[58:59], v[60:61]
	v_fma_f64 v[60:61], -v[56:57], v[58:59], 1.0
	s_delay_alu instid0(VALU_DEP_1) | instskip(SKIP_1) | instid1(VALU_DEP_1)
	v_fmac_f64_e32 v[58:59], v[58:59], v[60:61]
	v_div_scale_f64 v[60:61], vcc_lo, v[52:53], v[2:3], v[52:53]
	v_mul_f64_e32 v[62:63], v[60:61], v[58:59]
	s_delay_alu instid0(VALU_DEP_1) | instskip(NEXT) | instid1(VALU_DEP_1)
	v_fma_f64 v[56:57], -v[56:57], v[62:63], v[60:61]
	v_div_fmas_f64 v[56:57], v[56:57], v[58:59], v[62:63]
	v_fma_f64 v[58:59], -v[48:49], v[0:1], v[50:51]
	s_delay_alu instid0(VALU_DEP_2) | instskip(NEXT) | instid1(VALU_DEP_1)
	v_div_fixup_f64 v[52:53], v[56:57], v[2:3], v[52:53]
	v_add_f64_e64 v[58:59], v[58:59], -v[52:53]
.LBB47_40:
	s_wait_xcnt 0x0
	s_or_saveexec_b32 s5, s5
	v_add_f64_e64 v[16:17], v[16:17], -v[38:39]
	s_xor_b32 exec_lo, exec_lo, s5
	s_cbranch_execz .LBB47_42
; %bb.41:
	global_load_b64 v[38:39], v[20:21], off
	s_wait_loadcnt 0x0
	v_mul_f64_e32 v[52:53], v[16:17], v[38:39]
	s_delay_alu instid0(VALU_DEP_1) | instskip(NEXT) | instid1(VALU_DEP_1)
	v_mul_f64_e32 v[38:39], v[38:39], v[52:53]
	v_div_scale_f64 v[52:53], null, v[0:1], v[0:1], v[38:39]
	v_div_scale_f64 v[60:61], vcc_lo, v[38:39], v[0:1], v[38:39]
	s_delay_alu instid0(VALU_DEP_2) | instskip(SKIP_1) | instid1(TRANS32_DEP_1)
	v_rcp_f64_e32 v[56:57], v[52:53]
	v_nop
	v_fma_f64 v[58:59], -v[52:53], v[56:57], 1.0
	s_delay_alu instid0(VALU_DEP_1) | instskip(NEXT) | instid1(VALU_DEP_1)
	v_fmac_f64_e32 v[56:57], v[56:57], v[58:59]
	v_fma_f64 v[58:59], -v[52:53], v[56:57], 1.0
	s_delay_alu instid0(VALU_DEP_1) | instskip(NEXT) | instid1(VALU_DEP_1)
	v_fmac_f64_e32 v[56:57], v[56:57], v[58:59]
	v_mul_f64_e32 v[58:59], v[60:61], v[56:57]
	s_delay_alu instid0(VALU_DEP_1) | instskip(NEXT) | instid1(VALU_DEP_1)
	v_fma_f64 v[52:53], -v[52:53], v[58:59], v[60:61]
	v_div_fmas_f64 v[52:53], v[52:53], v[56:57], v[58:59]
	s_delay_alu instid0(VALU_DEP_1) | instskip(NEXT) | instid1(VALU_DEP_1)
	v_div_fixup_f64 v[38:39], v[52:53], v[0:1], v[38:39]
	v_div_scale_f64 v[52:53], null, v[0:1], v[0:1], v[38:39]
	s_delay_alu instid0(VALU_DEP_1) | instskip(SKIP_1) | instid1(TRANS32_DEP_1)
	v_rcp_f64_e32 v[56:57], v[52:53]
	v_nop
	v_fma_f64 v[58:59], -v[52:53], v[56:57], 1.0
	s_delay_alu instid0(VALU_DEP_1) | instskip(NEXT) | instid1(VALU_DEP_1)
	v_fmac_f64_e32 v[56:57], v[56:57], v[58:59]
	v_fma_f64 v[58:59], -v[52:53], v[56:57], 1.0
	s_delay_alu instid0(VALU_DEP_1) | instskip(SKIP_1) | instid1(VALU_DEP_1)
	v_fmac_f64_e32 v[56:57], v[56:57], v[58:59]
	v_div_scale_f64 v[58:59], vcc_lo, v[38:39], v[0:1], v[38:39]
	v_mul_f64_e32 v[60:61], v[58:59], v[56:57]
	s_delay_alu instid0(VALU_DEP_1) | instskip(NEXT) | instid1(VALU_DEP_1)
	v_fma_f64 v[52:53], -v[52:53], v[60:61], v[58:59]
	v_div_fmas_f64 v[52:53], v[52:53], v[56:57], v[60:61]
	v_fma_f64 v[56:57], -v[48:49], v[2:3], v[50:51]
	s_delay_alu instid0(VALU_DEP_2) | instskip(NEXT) | instid1(VALU_DEP_1)
	v_div_fixup_f64 v[38:39], v[52:53], v[0:1], v[38:39]
	v_add_f64_e64 v[58:59], v[56:57], -v[38:39]
.LBB47_42:
	s_wait_xcnt 0x0
	s_or_b32 exec_lo, exec_lo, s5
	s_wait_loadcnt 0x0
	v_mul_f64_e32 v[38:39], v[0:1], v[2:3]
	v_add_f64_e32 v[52:53], v[0:1], v[2:3]
	s_mov_b32 s5, exec_lo
	s_delay_alu instid0(VALU_DEP_2) | instskip(SKIP_1) | instid1(VALU_DEP_2)
	v_mul_f64_e32 v[56:57], v[48:49], v[38:39]
	v_mul_f64_e32 v[38:39], v[50:51], v[38:39]
	v_fma_f64 v[52:53], v[50:51], v[52:53], -v[56:57]
                                        ; implicit-def: $vgpr56_vgpr57
	v_cmpx_neq_f64_e32 0, v[58:59]
	s_xor_b32 s6, exec_lo, s5
	s_cbranch_execz .LBB47_48
; %bb.43:
	s_delay_alu instid0(VALU_DEP_3) | instskip(NEXT) | instid1(VALU_DEP_1)
	v_mul_f64_e32 v[0:1], -4.0, v[38:39]
	v_mul_f64_e32 v[0:1], v[0:1], v[58:59]
	s_delay_alu instid0(VALU_DEP_1) | instskip(NEXT) | instid1(VALU_DEP_1)
	v_fmac_f64_e32 v[0:1], v[52:53], v[52:53]
	v_cmp_gt_f64_e64 s5, 0x10000000, |v[0:1]|
	s_delay_alu instid0(VALU_DEP_1) | instskip(NEXT) | instid1(VALU_DEP_1)
	v_cndmask_b32_e64 v2, 0, 0x100, s5
	v_ldexp_f64 v[0:1], |v[0:1]|, v2
	s_delay_alu instid0(VALU_DEP_1) | instskip(SKIP_1) | instid1(TRANS32_DEP_1)
	v_rsq_f64_e32 v[2:3], v[0:1]
	v_cmp_class_f64_e64 vcc_lo, v[0:1], 0x260
	v_mul_f64_e32 v[54:55], v[0:1], v[2:3]
	v_mul_f64_e32 v[2:3], 0.5, v[2:3]
	s_delay_alu instid0(VALU_DEP_1) | instskip(NEXT) | instid1(VALU_DEP_1)
	v_fma_f64 v[56:57], -v[2:3], v[54:55], 0.5
	v_fmac_f64_e32 v[54:55], v[54:55], v[56:57]
	v_fmac_f64_e32 v[2:3], v[2:3], v[56:57]
	s_delay_alu instid0(VALU_DEP_2) | instskip(NEXT) | instid1(VALU_DEP_1)
	v_fma_f64 v[56:57], -v[54:55], v[54:55], v[0:1]
	v_fmac_f64_e32 v[54:55], v[56:57], v[2:3]
	s_delay_alu instid0(VALU_DEP_1) | instskip(NEXT) | instid1(VALU_DEP_1)
	v_fma_f64 v[56:57], -v[54:55], v[54:55], v[0:1]
	v_fmac_f64_e32 v[54:55], v[56:57], v[2:3]
	v_cndmask_b32_e64 v2, 0, 0xffffff80, s5
	v_cmp_ge_f64_e64 s5, 0, v[52:53]
                                        ; implicit-def: $vgpr56_vgpr57
	s_delay_alu instid0(VALU_DEP_2) | instskip(NEXT) | instid1(VALU_DEP_1)
	v_ldexp_f64 v[2:3], v[54:55], v2
	v_dual_cndmask_b32 v1, v3, v1 :: v_dual_cndmask_b32 v0, v2, v0
	s_and_saveexec_b32 s25, s5
	s_delay_alu instid0(SALU_CYCLE_1)
	s_xor_b32 s5, exec_lo, s25
	s_cbranch_execz .LBB47_45
; %bb.44:
	s_delay_alu instid0(VALU_DEP_1) | instskip(SKIP_1) | instid1(VALU_DEP_1)
	v_add_f64_e64 v[0:1], v[52:53], -v[0:1]
	v_add_f64_e32 v[2:3], v[58:59], v[58:59]
	v_div_scale_f64 v[38:39], null, v[2:3], v[2:3], v[0:1]
	s_delay_alu instid0(VALU_DEP_1) | instskip(SKIP_1) | instid1(TRANS32_DEP_1)
	v_rcp_f64_e32 v[52:53], v[38:39]
	v_nop
	v_fma_f64 v[54:55], -v[38:39], v[52:53], 1.0
	s_delay_alu instid0(VALU_DEP_1) | instskip(NEXT) | instid1(VALU_DEP_1)
	v_fmac_f64_e32 v[52:53], v[52:53], v[54:55]
	v_fma_f64 v[54:55], -v[38:39], v[52:53], 1.0
	s_delay_alu instid0(VALU_DEP_1) | instskip(SKIP_1) | instid1(VALU_DEP_1)
	v_fmac_f64_e32 v[52:53], v[52:53], v[54:55]
	v_div_scale_f64 v[54:55], vcc_lo, v[0:1], v[2:3], v[0:1]
	v_mul_f64_e32 v[56:57], v[54:55], v[52:53]
	s_delay_alu instid0(VALU_DEP_1) | instskip(NEXT) | instid1(VALU_DEP_1)
	v_fma_f64 v[38:39], -v[38:39], v[56:57], v[54:55]
	v_div_fmas_f64 v[38:39], v[38:39], v[52:53], v[56:57]
                                        ; implicit-def: $vgpr52_vgpr53
	s_delay_alu instid0(VALU_DEP_1)
	v_div_fixup_f64 v[56:57], v[38:39], v[2:3], v[0:1]
                                        ; implicit-def: $vgpr38_vgpr39
                                        ; implicit-def: $vgpr0_vgpr1
.LBB47_45:
	s_and_not1_saveexec_b32 s5, s5
	s_cbranch_execz .LBB47_47
; %bb.46:
	v_add_f64_e32 v[2:3], v[38:39], v[38:39]
	v_add_f64_e32 v[0:1], v[52:53], v[0:1]
	s_delay_alu instid0(VALU_DEP_1) | instskip(NEXT) | instid1(VALU_DEP_1)
	v_div_scale_f64 v[38:39], null, v[0:1], v[0:1], v[2:3]
	v_rcp_f64_e32 v[52:53], v[38:39]
	v_nop
	s_delay_alu instid0(TRANS32_DEP_1) | instskip(NEXT) | instid1(VALU_DEP_1)
	v_fma_f64 v[54:55], -v[38:39], v[52:53], 1.0
	v_fmac_f64_e32 v[52:53], v[52:53], v[54:55]
	s_delay_alu instid0(VALU_DEP_1) | instskip(NEXT) | instid1(VALU_DEP_1)
	v_fma_f64 v[54:55], -v[38:39], v[52:53], 1.0
	v_fmac_f64_e32 v[52:53], v[52:53], v[54:55]
	v_div_scale_f64 v[54:55], vcc_lo, v[2:3], v[0:1], v[2:3]
	s_delay_alu instid0(VALU_DEP_1) | instskip(NEXT) | instid1(VALU_DEP_1)
	v_mul_f64_e32 v[56:57], v[54:55], v[52:53]
	v_fma_f64 v[38:39], -v[38:39], v[56:57], v[54:55]
	s_delay_alu instid0(VALU_DEP_1) | instskip(NEXT) | instid1(VALU_DEP_1)
	v_div_fmas_f64 v[38:39], v[38:39], v[52:53], v[56:57]
	v_div_fixup_f64 v[56:57], v[38:39], v[0:1], v[2:3]
.LBB47_47:
	s_or_b32 exec_lo, exec_lo, s5
                                        ; implicit-def: $vgpr52_vgpr53
                                        ; implicit-def: $vgpr38_vgpr39
                                        ; implicit-def: $vgpr2_vgpr3
                                        ; implicit-def: $vgpr54_vgpr55
.LBB47_48:
	s_and_not1_saveexec_b32 s5, s6
	s_cbranch_execz .LBB47_56
; %bb.49:
	s_mov_b32 s6, exec_lo
	s_delay_alu instid0(VALU_DEP_2)
	v_cmpx_eq_f64_e32 0, v[52:53]
	s_cbranch_execz .LBB47_55
; %bb.50:
                                        ; implicit-def: $vgpr52_vgpr53
	s_and_saveexec_b32 s25, s0
	s_delay_alu instid0(SALU_CYCLE_1)
	s_xor_b32 s25, exec_lo, s25
	s_cbranch_execz .LBB47_52
; %bb.51:
	global_load_b64 v[2:3], v[20:21], off offset:8
	v_mul_f64_e32 v[0:1], v[0:1], v[0:1]
	s_wait_loadcnt 0x0
	v_mul_f64_e32 v[52:53], v[2:3], v[2:3]
                                        ; implicit-def: $vgpr2_vgpr3
	s_delay_alu instid0(VALU_DEP_1)
	v_fmac_f64_e32 v[52:53], v[54:55], v[0:1]
                                        ; implicit-def: $vgpr54_vgpr55
.LBB47_52:
	s_wait_xcnt 0x0
	s_and_not1_saveexec_b32 s25, s25
	s_cbranch_execz .LBB47_54
; %bb.53:
	global_load_b64 v[0:1], v[20:21], off
	s_wait_loadcnt 0x0
	v_mul_f64_e32 v[52:53], v[0:1], v[0:1]
	v_mul_f64_e32 v[0:1], v[2:3], v[2:3]
	s_delay_alu instid0(VALU_DEP_1)
	v_fmac_f64_e32 v[52:53], v[54:55], v[0:1]
.LBB47_54:
	s_wait_xcnt 0x0
	s_or_b32 exec_lo, exec_lo, s25
.LBB47_55:
	s_delay_alu instid0(SALU_CYCLE_1) | instskip(NEXT) | instid1(VALU_DEP_1)
	s_or_b32 exec_lo, exec_lo, s6
	v_div_scale_f64 v[0:1], null, v[52:53], v[52:53], v[38:39]
	s_delay_alu instid0(VALU_DEP_1) | instskip(SKIP_1) | instid1(TRANS32_DEP_1)
	v_rcp_f64_e32 v[2:3], v[0:1]
	v_nop
	v_fma_f64 v[54:55], -v[0:1], v[2:3], 1.0
	s_delay_alu instid0(VALU_DEP_1) | instskip(NEXT) | instid1(VALU_DEP_1)
	v_fmac_f64_e32 v[2:3], v[2:3], v[54:55]
	v_fma_f64 v[54:55], -v[0:1], v[2:3], 1.0
	s_delay_alu instid0(VALU_DEP_1) | instskip(SKIP_1) | instid1(VALU_DEP_1)
	v_fmac_f64_e32 v[2:3], v[2:3], v[54:55]
	v_div_scale_f64 v[54:55], vcc_lo, v[38:39], v[52:53], v[38:39]
	v_mul_f64_e32 v[56:57], v[54:55], v[2:3]
	s_delay_alu instid0(VALU_DEP_1) | instskip(NEXT) | instid1(VALU_DEP_1)
	v_fma_f64 v[0:1], -v[0:1], v[56:57], v[54:55]
	v_div_fmas_f64 v[0:1], v[0:1], v[2:3], v[56:57]
	s_delay_alu instid0(VALU_DEP_1)
	v_div_fixup_f64 v[56:57], v[0:1], v[52:53], v[38:39]
.LBB47_56:
	s_or_b32 exec_lo, exec_lo, s5
	s_delay_alu instid0(VALU_DEP_1) | instskip(SKIP_1) | instid1(VALU_DEP_1)
	v_mul_f64_e32 v[0:1], v[50:51], v[56:57]
	s_mov_b32 s5, exec_lo
	v_cmpx_le_f64_e32 0, v[0:1]
	s_cbranch_execz .LBB47_58
; %bb.57:
	v_div_scale_f64 v[0:1], null, v[48:49], v[48:49], -v[50:51]
	s_delay_alu instid0(VALU_DEP_1) | instskip(SKIP_1) | instid1(TRANS32_DEP_1)
	v_rcp_f64_e32 v[2:3], v[0:1]
	v_nop
	v_fma_f64 v[38:39], -v[0:1], v[2:3], 1.0
	s_delay_alu instid0(VALU_DEP_1) | instskip(NEXT) | instid1(VALU_DEP_1)
	v_fmac_f64_e32 v[2:3], v[2:3], v[38:39]
	v_fma_f64 v[38:39], -v[0:1], v[2:3], 1.0
	s_delay_alu instid0(VALU_DEP_1) | instskip(SKIP_1) | instid1(VALU_DEP_1)
	v_fmac_f64_e32 v[2:3], v[2:3], v[38:39]
	v_div_scale_f64 v[38:39], vcc_lo, -v[50:51], v[48:49], -v[50:51]
	v_mul_f64_e32 v[52:53], v[38:39], v[2:3]
	s_delay_alu instid0(VALU_DEP_1) | instskip(NEXT) | instid1(VALU_DEP_1)
	v_fma_f64 v[0:1], -v[0:1], v[52:53], v[38:39]
	v_div_fmas_f64 v[0:1], v[0:1], v[2:3], v[52:53]
	s_delay_alu instid0(VALU_DEP_1)
	v_div_fixup_f64 v[56:57], v[0:1], v[48:49], -v[50:51]
.LBB47_58:
	s_or_b32 exec_lo, exec_lo, s5
	v_cmp_lt_f64_e32 vcc_lo, v[44:45], v[42:43]
	v_cmp_lt_f64_e64 s5, 0, v[50:51]
	v_cmp_lt_f64_e64 s6, v[42:43], v[40:41]
	v_dual_cndmask_b32 v2, v44, v42 :: v_dual_cndmask_b32 v3, v45, v43
	v_cmp_nge_f64_e32 vcc_lo, 0, v[50:51]
	s_and_b32 s5, s5, s6
	s_delay_alu instid0(SALU_CYCLE_1) | instskip(NEXT) | instid1(VALU_DEP_3)
	v_dual_add_f64 v[0:1], v[42:43], v[56:57] :: v_dual_cndmask_b32 v41, v41, v43, s5
	v_dual_cndmask_b32 v40, v40, v42, s5 :: v_dual_cndmask_b32 v39, v3, v45, vcc_lo
	v_cndmask_b32_e32 v38, v2, v44, vcc_lo
	s_delay_alu instid0(VALU_DEP_2) | instskip(NEXT) | instid1(VALU_DEP_2)
	v_cmp_gt_f64_e32 vcc_lo, v[0:1], v[40:41]
	v_cmp_lt_f64_e64 s5, v[0:1], v[38:39]
	s_or_b32 s6, vcc_lo, s5
	s_delay_alu instid0(SALU_CYCLE_1)
	s_and_saveexec_b32 s5, s6
	s_cbranch_execz .LBB47_64
; %bb.59:
	s_mov_b32 s6, exec_lo
                                        ; implicit-def: $vgpr56_vgpr57
	v_cmpx_ngt_f64_e32 0, v[50:51]
	s_xor_b32 s6, exec_lo, s6
	s_cbranch_execz .LBB47_61
; %bb.60:
	v_add_f64_e64 v[0:1], v[38:39], -v[42:43]
	s_delay_alu instid0(VALU_DEP_1)
	v_mul_f64_e32 v[56:57], 0.5, v[0:1]
.LBB47_61:
	s_and_not1_saveexec_b32 s6, s6
	s_cbranch_execz .LBB47_63
; %bb.62:
	v_add_f64_e64 v[0:1], v[40:41], -v[42:43]
	s_delay_alu instid0(VALU_DEP_1)
	v_mul_f64_e32 v[56:57], 0.5, v[0:1]
.LBB47_63:
	s_or_b32 exec_lo, exec_lo, s6
.LBB47_64:
	s_delay_alu instid0(SALU_CYCLE_1) | instskip(NEXT) | instid1(VALU_DEP_1)
	s_or_b32 exec_lo, exec_lo, s5
	v_add_f64_e64 v[46:47], v[46:47], -v[56:57]
	v_mov_b64_e32 v[44:45], 0
	v_mov_b64_e32 v[0:1], 0
	;; [unrolled: 1-line block ×3, first 2 shown]
	global_store_b64 v[28:29], v[46:47], off
	s_wait_xcnt 0x0
	s_and_saveexec_b32 s5, s2
	s_cbranch_execz .LBB47_68
; %bb.65:
	v_mov_b64_e32 v[44:45], 0
	v_mov_b64_e32 v[46:47], v[12:13]
	;; [unrolled: 1-line block ×5, first 2 shown]
	v_mov_b32_e32 v19, v18
	s_mov_b32 s6, 0
.LBB47_66:                              ; =>This Inner Loop Header: Depth=1
	global_load_b64 v[52:53], v[48:49], off
	s_wait_loadcnt 0x0
	v_dual_add_f64 v[52:53], v[52:53], -v[56:57] :: v_dual_add_nc_u32 v19, -1, v19
	global_store_b64 v[48:49], v[52:53], off
	global_load_b64 v[54:55], v[46:47], off
	s_wait_xcnt 0x1
	v_add_nc_u64_e32 v[48:49], 8, v[48:49]
	s_wait_xcnt 0x0
	v_add_nc_u64_e32 v[46:47], 8, v[46:47]
	s_wait_loadcnt 0x0
	v_div_scale_f64 v[58:59], null, v[52:53], v[52:53], v[54:55]
	v_div_scale_f64 v[64:65], vcc_lo, v[54:55], v[52:53], v[54:55]
	s_delay_alu instid0(VALU_DEP_2) | instskip(SKIP_1) | instid1(TRANS32_DEP_1)
	v_rcp_f64_e32 v[60:61], v[58:59]
	v_nop
	v_fma_f64 v[62:63], -v[58:59], v[60:61], 1.0
	s_delay_alu instid0(VALU_DEP_1) | instskip(NEXT) | instid1(VALU_DEP_1)
	v_fmac_f64_e32 v[60:61], v[60:61], v[62:63]
	v_fma_f64 v[62:63], -v[58:59], v[60:61], 1.0
	s_delay_alu instid0(VALU_DEP_1) | instskip(NEXT) | instid1(VALU_DEP_1)
	v_fmac_f64_e32 v[60:61], v[60:61], v[62:63]
	v_mul_f64_e32 v[62:63], v[64:65], v[60:61]
	s_delay_alu instid0(VALU_DEP_1) | instskip(NEXT) | instid1(VALU_DEP_1)
	v_fma_f64 v[58:59], -v[58:59], v[62:63], v[64:65]
	v_div_fmas_f64 v[58:59], v[58:59], v[60:61], v[62:63]
	v_cmp_eq_u32_e32 vcc_lo, 0, v19
	s_or_b32 s6, vcc_lo, s6
	s_delay_alu instid0(VALU_DEP_2) | instskip(NEXT) | instid1(VALU_DEP_1)
	v_div_fixup_f64 v[52:53], v[58:59], v[52:53], v[54:55]
	v_fmac_f64_e32 v[2:3], v[54:55], v[52:53]
	v_fmac_f64_e32 v[44:45], v[52:53], v[52:53]
	s_delay_alu instid0(VALU_DEP_2)
	v_add_f64_e32 v[0:1], v[0:1], v[2:3]
	s_and_not1_b32 exec_lo, exec_lo, s6
	s_cbranch_execnz .LBB47_66
; %bb.67:
	s_or_b32 exec_lo, exec_lo, s6
	s_delay_alu instid0(VALU_DEP_1)
	v_and_b32_e32 v1, 0x7fffffff, v1
.LBB47_68:
	s_or_b32 exec_lo, exec_lo, s5
                                        ; implicit-def: $vgpr60_vgpr61
                                        ; implicit-def: $vgpr58_vgpr59
	s_and_saveexec_b32 s5, s4
	s_delay_alu instid0(SALU_CYCLE_1)
	s_xor_b32 s4, exec_lo, s5
	s_cbranch_execz .LBB47_70
; %bb.69:
	v_lshlrev_b64_e32 v[46:47], 3, v[14:15]
	v_lshl_add_u64 v[36:37], s[22:23], 3, v[36:37]
	s_add_nc_u64 s[26:27], s[18:19], s[16:17]
	s_delay_alu instid0(SALU_CYCLE_1) | instskip(NEXT) | instid1(VALU_DEP_2)
	v_lshl_add_u64 v[34:35], v[34:35], 3, s[26:27]
	v_add_nc_u64_e32 v[36:37], v[36:37], v[46:47]
	s_delay_alu instid0(VALU_DEP_2) | instskip(NEXT) | instid1(VALU_DEP_2)
	v_add_nc_u64_e32 v[58:59], v[34:35], v[46:47]
                                        ; implicit-def: $vgpr34_vgpr35
	v_lshl_add_u64 v[60:61], s[20:21], 3, v[36:37]
                                        ; implicit-def: $vgpr36_vgpr37
.LBB47_70:
	s_or_saveexec_b32 s4, s4
	v_mov_b64_e32 v[52:53], 0
	v_mov_b64_e32 v[46:47], 0
	s_xor_b32 exec_lo, exec_lo, s4
	s_cbranch_execz .LBB47_74
; %bb.71:
	v_lshlrev_b64_e32 v[46:47], 3, v[14:15]
	v_lshl_add_u64 v[36:37], s[22:23], 3, v[36:37]
	s_add_nc_u64 s[16:17], s[18:19], s[16:17]
	v_mov_b64_e32 v[52:53], 0
	v_lshl_add_u64 v[34:35], v[34:35], 3, s[16:17]
	v_mov_b32_e32 v15, v14
	s_mov_b32 s5, 0
	v_add_nc_u64_e32 v[36:37], v[36:37], v[46:47]
	s_delay_alu instid0(VALU_DEP_3) | instskip(SKIP_1) | instid1(VALU_DEP_3)
	v_add_nc_u64_e32 v[58:59], v[34:35], v[46:47]
	v_mov_b64_e32 v[46:47], 0
	v_lshl_add_u64 v[60:61], s[20:21], 3, v[36:37]
	s_delay_alu instid0(VALU_DEP_3) | instskip(NEXT) | instid1(VALU_DEP_2)
	v_add_nc_u64_e32 v[34:35], s[8:9], v[58:59]
	v_add_nc_u64_e32 v[36:37], s[10:11], v[60:61]
.LBB47_72:                              ; =>This Inner Loop Header: Depth=1
	global_load_b64 v[48:49], v[36:37], off
	s_wait_loadcnt 0x0
	v_dual_add_f64 v[48:49], v[48:49], -v[56:57] :: v_dual_add_nc_u32 v15, -1, v15
	global_store_b64 v[36:37], v[48:49], off
	global_load_b64 v[54:55], v[34:35], off
	s_wait_xcnt 0x1
	v_add_nc_u64_e32 v[36:37], -8, v[36:37]
	s_wait_xcnt 0x0
	v_add_nc_u64_e32 v[34:35], -8, v[34:35]
	s_wait_loadcnt 0x0
	v_div_scale_f64 v[62:63], null, v[48:49], v[48:49], v[54:55]
	v_div_scale_f64 v[68:69], vcc_lo, v[54:55], v[48:49], v[54:55]
	s_delay_alu instid0(VALU_DEP_2) | instskip(SKIP_1) | instid1(TRANS32_DEP_1)
	v_rcp_f64_e32 v[64:65], v[62:63]
	v_nop
	v_fma_f64 v[66:67], -v[62:63], v[64:65], 1.0
	s_delay_alu instid0(VALU_DEP_1) | instskip(NEXT) | instid1(VALU_DEP_1)
	v_fmac_f64_e32 v[64:65], v[64:65], v[66:67]
	v_fma_f64 v[66:67], -v[62:63], v[64:65], 1.0
	s_delay_alu instid0(VALU_DEP_1) | instskip(NEXT) | instid1(VALU_DEP_1)
	v_fmac_f64_e32 v[64:65], v[64:65], v[66:67]
	v_mul_f64_e32 v[66:67], v[68:69], v[64:65]
	s_delay_alu instid0(VALU_DEP_1) | instskip(NEXT) | instid1(VALU_DEP_1)
	v_fma_f64 v[62:63], -v[62:63], v[66:67], v[68:69]
	v_div_fmas_f64 v[62:63], v[62:63], v[64:65], v[66:67]
	v_cmp_le_i32_e32 vcc_lo, v15, v18
	s_or_b32 s5, vcc_lo, s5
	s_delay_alu instid0(VALU_DEP_2) | instskip(NEXT) | instid1(VALU_DEP_1)
	v_div_fixup_f64 v[48:49], v[62:63], v[48:49], v[54:55]
	v_fmac_f64_e32 v[46:47], v[54:55], v[48:49]
	v_fmac_f64_e32 v[52:53], v[48:49], v[48:49]
	s_delay_alu instid0(VALU_DEP_2)
	v_add_f64_e32 v[0:1], v[0:1], v[46:47]
	s_and_not1_b32 exec_lo, exec_lo, s5
	s_cbranch_execnz .LBB47_72
; %bb.73:
	s_or_b32 exec_lo, exec_lo, s5
.LBB47_74:
	s_delay_alu instid0(SALU_CYCLE_1)
	s_or_b32 exec_lo, exec_lo, s4
	global_load_b64 v[36:37], v[30:31], off
	global_load_b64 v[48:49], v[28:29], off
	v_and_b32_e32 v65, 0x7fffffff, v51
	v_mov_b32_e32 v64, v50
	s_mov_b32 s6, 1
	s_mov_b32 s5, 0
	s_delay_alu instid0(VALU_DEP_1) | instskip(NEXT) | instid1(VALU_DEP_1)
	v_div_scale_f64 v[66:67], null, 0x40240000, 0x40240000, v[64:65]
	v_rcp_f64_e32 v[68:69], v[66:67]
	s_wait_loadcnt 0x0
	v_div_scale_f64 v[34:35], null, v[48:49], v[48:49], v[36:37]
	v_div_scale_f64 v[70:71], vcc_lo, v[36:37], v[48:49], v[36:37]
	s_delay_alu instid0(VALU_DEP_2) | instskip(SKIP_1) | instid1(TRANS32_DEP_1)
	v_rcp_f64_e32 v[54:55], v[34:35]
	v_nop
	v_fma_f64 v[62:63], -v[34:35], v[54:55], 1.0
	s_delay_alu instid0(VALU_DEP_1) | instskip(NEXT) | instid1(VALU_DEP_1)
	v_fmac_f64_e32 v[54:55], v[54:55], v[62:63]
	v_fma_f64 v[62:63], -v[34:35], v[54:55], 1.0
	s_delay_alu instid0(VALU_DEP_1) | instskip(NEXT) | instid1(TRANS32_DEP_2)
	v_fmac_f64_e32 v[54:55], v[54:55], v[62:63]
	v_fma_f64 v[62:63], -v[66:67], v[68:69], 1.0
	s_delay_alu instid0(VALU_DEP_2) | instskip(NEXT) | instid1(VALU_DEP_2)
	v_mul_f64_e32 v[72:73], v[70:71], v[54:55]
	v_fmac_f64_e32 v[68:69], v[68:69], v[62:63]
	s_delay_alu instid0(VALU_DEP_2) | instskip(NEXT) | instid1(VALU_DEP_2)
	v_fma_f64 v[34:35], -v[34:35], v[72:73], v[70:71]
	v_fma_f64 v[62:63], -v[66:67], v[68:69], 1.0
	s_delay_alu instid0(VALU_DEP_2) | instskip(NEXT) | instid1(VALU_DEP_2)
	v_div_fmas_f64 v[34:35], v[34:35], v[54:55], v[72:73]
	v_fmac_f64_e32 v[68:69], v[68:69], v[62:63]
	s_delay_alu instid0(VALU_DEP_2) | instskip(SKIP_3) | instid1(VALU_DEP_4)
	v_div_fixup_f64 v[62:63], v[34:35], v[48:49], v[36:37]
	v_add_f64_e32 v[34:35], v[24:25], v[2:3]
	v_div_scale_f64 v[64:65], vcc_lo, v[64:65], 0x40240000, v[64:65]
	v_add_f64_e64 v[2:3], v[46:47], -v[2:3]
	v_mul_f64_e32 v[72:73], v[36:37], v[62:63]
	s_delay_alu instid0(VALU_DEP_4) | instskip(SKIP_1) | instid1(VALU_DEP_4)
	v_add_f64_e32 v[46:47], v[34:35], v[46:47]
	v_add_f64_e32 v[34:35], v[42:43], v[56:57]
	v_fmamk_f64 v[2:3], v[2:3], 0x40200000, v[32:33]
	s_delay_alu instid0(VALU_DEP_1) | instskip(NEXT) | instid1(VALU_DEP_4)
	v_fma_f64 v[2:3], 0x40080000, |v[72:73]|, v[2:3]
	v_fmac_f64_e32 v[46:47], v[36:37], v[62:63]
	v_mul_f64_e32 v[70:71], v[64:65], v[68:69]
	s_delay_alu instid0(VALU_DEP_2) | instskip(NEXT) | instid1(VALU_DEP_2)
	v_xor_b32_e32 v15, 0x80000000, v47
	v_fma_f64 v[64:65], -v[66:67], v[70:71], v[64:65]
	v_add_f64_e32 v[54:55], v[44:45], v[52:53]
	s_delay_alu instid0(VALU_DEP_2) | instskip(NEXT) | instid1(VALU_DEP_1)
	v_div_fmas_f64 v[42:43], v[64:65], v[68:69], v[70:71]
	v_div_fixup_f64 v[36:37], v[42:43], 0x40240000, |v[50:51]|
	v_cndmask_b32_e64 v43, v47, v15, s3
	s_delay_alu instid0(VALU_DEP_4) | instskip(SKIP_1) | instid1(VALU_DEP_1)
	v_fmac_f64_e32 v[54:55], v[62:63], v[62:63]
	v_mov_b32_e32 v42, v46
	v_cmp_gt_f64_e64 s16, v[42:43], v[36:37]
	v_add_nc_u64_e32 v[36:37], s[10:11], v[60:61]
	s_delay_alu instid0(VALU_DEP_4) | instskip(SKIP_1) | instid1(VALU_DEP_2)
	v_fma_f64 v[2:3], |v[34:35]|, v[54:55], v[2:3]
	v_add_nc_u64_e32 v[42:43], s[8:9], v[58:59]
                                        ; implicit-def: $sgpr8
	v_add_f64_e32 v[0:1], v[0:1], v[2:3]
	s_branch .LBB47_77
.LBB47_75:                              ;   in Loop: Header=BB47_77 Depth=1
	s_or_b32 exec_lo, exec_lo, s3
	global_load_b64 v[56:57], v[30:31], off
	global_load_b64 v[48:49], v[28:29], off
	v_and_b32_e32 v65, 0x7fffffff, v47
	v_mov_b32_e32 v64, v46
	v_add_f64_e32 v[34:35], v[34:35], v[50:51]
	s_add_co_i32 s6, s6, 1
	s_delay_alu instid0(VALU_DEP_2) | instskip(NEXT) | instid1(VALU_DEP_1)
	v_div_scale_f64 v[66:67], null, 0x40240000, 0x40240000, v[64:65]
	v_rcp_f64_e32 v[68:69], v[66:67]
	v_nop
	s_delay_alu instid0(TRANS32_DEP_1) | instskip(NEXT) | instid1(VALU_DEP_1)
	v_fma_f64 v[70:71], -v[66:67], v[68:69], 1.0
	v_fmac_f64_e32 v[68:69], v[68:69], v[70:71]
	s_delay_alu instid0(VALU_DEP_1) | instskip(NEXT) | instid1(VALU_DEP_1)
	v_fma_f64 v[72:73], -v[66:67], v[68:69], 1.0
	v_fmac_f64_e32 v[68:69], v[68:69], v[72:73]
	s_wait_loadcnt 0x0
	v_div_scale_f64 v[58:59], null, v[48:49], v[48:49], v[56:57]
	s_delay_alu instid0(VALU_DEP_1) | instskip(SKIP_1) | instid1(TRANS32_DEP_1)
	v_rcp_f64_e32 v[60:61], v[58:59]
	v_nop
	v_fma_f64 v[62:63], -v[58:59], v[60:61], 1.0
	s_delay_alu instid0(VALU_DEP_1) | instskip(NEXT) | instid1(VALU_DEP_1)
	v_fmac_f64_e32 v[60:61], v[60:61], v[62:63]
	v_fma_f64 v[62:63], -v[58:59], v[60:61], 1.0
	s_delay_alu instid0(VALU_DEP_1) | instskip(SKIP_1) | instid1(VALU_DEP_1)
	v_fmac_f64_e32 v[60:61], v[60:61], v[62:63]
	v_div_scale_f64 v[62:63], vcc_lo, v[56:57], v[48:49], v[56:57]
	v_mul_f64_e32 v[70:71], v[62:63], v[60:61]
	s_delay_alu instid0(VALU_DEP_1) | instskip(NEXT) | instid1(VALU_DEP_1)
	v_fma_f64 v[58:59], -v[58:59], v[70:71], v[62:63]
	v_div_fmas_f64 v[58:59], v[58:59], v[60:61], v[70:71]
	v_add_f64_e32 v[60:61], v[24:25], v[2:3]
	v_div_scale_f64 v[64:65], s3, v[64:65], 0x40240000, v[64:65]
	v_add_f64_e64 v[2:3], v[54:55], -v[2:3]
	s_mov_b32 vcc_lo, s3
	s_delay_alu instid0(VALU_DEP_4) | instskip(NEXT) | instid1(VALU_DEP_4)
	v_div_fixup_f64 v[62:63], v[58:59], v[48:49], v[56:57]
	v_add_f64_e32 v[58:59], v[60:61], v[54:55]
	s_delay_alu instid0(VALU_DEP_4) | instskip(SKIP_2) | instid1(VALU_DEP_4)
	v_mul_f64_e32 v[70:71], v[64:65], v[68:69]
	v_add_f64_e32 v[54:55], v[44:45], v[52:53]
	v_fmamk_f64 v[2:3], v[2:3], 0x40200000, v[32:33]
	v_fmac_f64_e32 v[58:59], v[56:57], v[62:63]
	s_delay_alu instid0(VALU_DEP_4) | instskip(SKIP_2) | instid1(VALU_DEP_4)
	v_fma_f64 v[60:61], -v[66:67], v[70:71], v[64:65]
	v_mul_f64_e32 v[64:65], v[56:57], v[62:63]
	v_fmac_f64_e32 v[54:55], v[62:63], v[62:63]
	v_mul_f64_e32 v[50:51], v[46:47], v[58:59]
	s_delay_alu instid0(VALU_DEP_4) | instskip(NEXT) | instid1(VALU_DEP_4)
	v_div_fmas_f64 v[56:57], v[60:61], v[68:69], v[70:71]
	v_fma_f64 v[2:3], 0x40080000, |v[64:65]|, v[2:3]
	s_delay_alu instid0(VALU_DEP_3) | instskip(NEXT) | instid1(VALU_DEP_3)
	v_cmp_lt_f64_e32 vcc_lo, 0, v[50:51]
	v_div_fixup_f64 v[46:47], v[56:57], 0x40240000, |v[46:47]|
	s_delay_alu instid0(VALU_DEP_3) | instskip(NEXT) | instid1(VALU_DEP_2)
	v_fma_f64 v[2:3], |v[34:35]|, v[54:55], v[2:3]
	v_cmp_gt_f64_e64 s3, |v[58:59]|, v[46:47]
	s_delay_alu instid0(VALU_DEP_2) | instskip(SKIP_2) | instid1(SALU_CYCLE_1)
	v_add_f64_e32 v[0:1], v[0:1], v[2:3]
	v_mov_b64_e32 v[46:47], v[58:59]
	s_and_b32 s3, vcc_lo, s3
	s_xor_b32 s3, s16, s3
	s_cmp_eq_u32 s6, 50
                                        ; implicit-def: $sgpr16
	s_cselect_b32 s4, -1, 0
	s_and_not1_b32 s8, s8, exec_lo
	s_and_b32 s4, s4, exec_lo
	s_delay_alu instid0(SALU_CYCLE_1)
	s_or_b32 s8, s8, s4
.LBB47_76:                              ;   in Loop: Header=BB47_77 Depth=1
	s_wait_xcnt 0x0
	s_or_b32 exec_lo, exec_lo, s9
	s_delay_alu instid0(SALU_CYCLE_1) | instskip(NEXT) | instid1(SALU_CYCLE_1)
	s_and_b32 s4, exec_lo, s8
	s_or_b32 s5, s4, s5
	s_and_not1_b32 s4, s16, exec_lo
	s_and_b32 s3, s3, exec_lo
	s_delay_alu instid0(SALU_CYCLE_1)
	s_or_b32 s16, s4, s3
	s_and_not1_b32 exec_lo, exec_lo, s5
	s_cbranch_execz .LBB47_124
.LBB47_77:                              ; =>This Loop Header: Depth=1
                                        ;     Child Loop BB47_118 Depth 2
                                        ;     Child Loop BB47_122 Depth 2
	s_delay_alu instid0(VALU_DEP_1) | instskip(SKIP_1) | instid1(VALU_DEP_1)
	v_mul_f64_e32 v[0:1], s[14:15], v[0:1]
	s_or_b32 s8, s8, exec_lo
                                        ; implicit-def: $sgpr3
	v_cmp_nle_f64_e64 s4, |v[46:47]|, v[0:1]
                                        ; implicit-def: $vgpr0_vgpr1
	s_wait_xcnt 0x0
	s_and_saveexec_b32 s9, s4
	s_cbranch_execz .LBB47_76
; %bb.78:                               ;   in Loop: Header=BB47_77 Depth=1
	global_load_b128 v[0:3], v[10:11], off
	s_xor_b32 s4, s16, -1
                                        ; implicit-def: $vgpr60_vgpr61
	s_wait_xcnt 0x0
	s_and_saveexec_b32 s3, s4
	s_delay_alu instid0(SALU_CYCLE_1)
	s_xor_b32 s3, exec_lo, s3
	s_cbranch_execz .LBB47_84
; %bb.79:                               ;   in Loop: Header=BB47_77 Depth=1
	v_mul_f64_e32 v[50:51], v[62:63], v[62:63]
	s_and_saveexec_b32 s10, s0
	s_delay_alu instid0(SALU_CYCLE_1)
	s_xor_b32 s10, exec_lo, s10
; %bb.80:                               ;   in Loop: Header=BB47_77 Depth=1
	s_delay_alu instid0(VALU_DEP_1)
	v_add_f64_e32 v[52:53], v[50:51], v[52:53]
                                        ; implicit-def: $vgpr50_vgpr51
; %bb.81:                               ;   in Loop: Header=BB47_77 Depth=1
	s_and_not1_saveexec_b32 s10, s10
; %bb.82:                               ;   in Loop: Header=BB47_77 Depth=1
	v_add_f64_e32 v[44:45], v[50:51], v[44:45]
; %bb.83:                               ;   in Loop: Header=BB47_77 Depth=1
	s_or_b32 exec_lo, exec_lo, s10
	s_wait_loadcnt 0x0
	s_delay_alu instid0(VALU_DEP_1) | instskip(NEXT) | instid1(VALU_DEP_1)
	v_fma_f64 v[50:51], -v[0:1], v[44:45], v[46:47]
	v_fma_f64 v[60:61], -v[2:3], v[52:53], v[50:51]
.LBB47_84:                              ;   in Loop: Header=BB47_77 Depth=1
	s_and_not1_saveexec_b32 s3, s3
	s_cbranch_execz .LBB47_90
; %bb.85:                               ;   in Loop: Header=BB47_77 Depth=1
                                        ; implicit-def: $vgpr60_vgpr61
	s_and_saveexec_b32 s10, s0
	s_delay_alu instid0(SALU_CYCLE_1)
	s_xor_b32 s10, exec_lo, s10
	s_cbranch_execz .LBB47_87
; %bb.86:                               ;   in Loop: Header=BB47_77 Depth=1
	global_load_b64 v[50:51], v[20:21], off offset:8
	s_wait_loadcnt 0x0
	v_mul_f64_e32 v[56:57], v[22:23], v[50:51]
	s_delay_alu instid0(VALU_DEP_1) | instskip(NEXT) | instid1(VALU_DEP_1)
	v_mul_f64_e32 v[50:51], v[50:51], v[56:57]
	v_div_scale_f64 v[56:57], null, v[2:3], v[2:3], v[50:51]
	v_div_scale_f64 v[62:63], vcc_lo, v[50:51], v[2:3], v[50:51]
	s_delay_alu instid0(VALU_DEP_2) | instskip(SKIP_1) | instid1(TRANS32_DEP_1)
	v_rcp_f64_e32 v[58:59], v[56:57]
	v_nop
	v_fma_f64 v[60:61], -v[56:57], v[58:59], 1.0
	s_delay_alu instid0(VALU_DEP_1) | instskip(NEXT) | instid1(VALU_DEP_1)
	v_fmac_f64_e32 v[58:59], v[58:59], v[60:61]
	v_fma_f64 v[60:61], -v[56:57], v[58:59], 1.0
	s_delay_alu instid0(VALU_DEP_1) | instskip(NEXT) | instid1(VALU_DEP_1)
	v_fmac_f64_e32 v[58:59], v[58:59], v[60:61]
	v_mul_f64_e32 v[60:61], v[62:63], v[58:59]
	s_delay_alu instid0(VALU_DEP_1) | instskip(NEXT) | instid1(VALU_DEP_1)
	v_fma_f64 v[56:57], -v[56:57], v[60:61], v[62:63]
	v_div_fmas_f64 v[56:57], v[56:57], v[58:59], v[60:61]
	s_delay_alu instid0(VALU_DEP_1) | instskip(NEXT) | instid1(VALU_DEP_1)
	v_div_fixup_f64 v[50:51], v[56:57], v[2:3], v[50:51]
	v_div_scale_f64 v[56:57], null, v[2:3], v[2:3], v[50:51]
	s_delay_alu instid0(VALU_DEP_1) | instskip(SKIP_1) | instid1(TRANS32_DEP_1)
	v_rcp_f64_e32 v[58:59], v[56:57]
	v_nop
	v_fma_f64 v[60:61], -v[56:57], v[58:59], 1.0
	s_delay_alu instid0(VALU_DEP_1) | instskip(NEXT) | instid1(VALU_DEP_1)
	v_fmac_f64_e32 v[58:59], v[58:59], v[60:61]
	v_fma_f64 v[60:61], -v[56:57], v[58:59], 1.0
	s_delay_alu instid0(VALU_DEP_1) | instskip(SKIP_1) | instid1(VALU_DEP_1)
	v_fmac_f64_e32 v[58:59], v[58:59], v[60:61]
	v_div_scale_f64 v[60:61], vcc_lo, v[50:51], v[2:3], v[50:51]
	v_mul_f64_e32 v[62:63], v[60:61], v[58:59]
	s_delay_alu instid0(VALU_DEP_1) | instskip(NEXT) | instid1(VALU_DEP_1)
	v_fma_f64 v[56:57], -v[56:57], v[62:63], v[60:61]
	v_div_fmas_f64 v[56:57], v[56:57], v[58:59], v[62:63]
	v_fma_f64 v[58:59], -v[54:55], v[0:1], v[46:47]
	s_delay_alu instid0(VALU_DEP_2) | instskip(NEXT) | instid1(VALU_DEP_1)
	v_div_fixup_f64 v[50:51], v[56:57], v[2:3], v[50:51]
	v_add_f64_e64 v[60:61], v[58:59], -v[50:51]
.LBB47_87:                              ;   in Loop: Header=BB47_77 Depth=1
	s_wait_xcnt 0x0
	s_and_not1_saveexec_b32 s10, s10
	s_cbranch_execz .LBB47_89
; %bb.88:                               ;   in Loop: Header=BB47_77 Depth=1
	global_load_b64 v[50:51], v[20:21], off
	s_wait_loadcnt 0x0
	v_mul_f64_e32 v[56:57], v[16:17], v[50:51]
	s_delay_alu instid0(VALU_DEP_1) | instskip(NEXT) | instid1(VALU_DEP_1)
	v_mul_f64_e32 v[50:51], v[50:51], v[56:57]
	v_div_scale_f64 v[56:57], null, v[0:1], v[0:1], v[50:51]
	v_div_scale_f64 v[62:63], vcc_lo, v[50:51], v[0:1], v[50:51]
	s_delay_alu instid0(VALU_DEP_2) | instskip(SKIP_1) | instid1(TRANS32_DEP_1)
	v_rcp_f64_e32 v[58:59], v[56:57]
	v_nop
	v_fma_f64 v[60:61], -v[56:57], v[58:59], 1.0
	s_delay_alu instid0(VALU_DEP_1) | instskip(NEXT) | instid1(VALU_DEP_1)
	v_fmac_f64_e32 v[58:59], v[58:59], v[60:61]
	v_fma_f64 v[60:61], -v[56:57], v[58:59], 1.0
	s_delay_alu instid0(VALU_DEP_1) | instskip(NEXT) | instid1(VALU_DEP_1)
	v_fmac_f64_e32 v[58:59], v[58:59], v[60:61]
	v_mul_f64_e32 v[60:61], v[62:63], v[58:59]
	s_delay_alu instid0(VALU_DEP_1) | instskip(NEXT) | instid1(VALU_DEP_1)
	v_fma_f64 v[56:57], -v[56:57], v[60:61], v[62:63]
	v_div_fmas_f64 v[56:57], v[56:57], v[58:59], v[60:61]
	s_delay_alu instid0(VALU_DEP_1) | instskip(NEXT) | instid1(VALU_DEP_1)
	v_div_fixup_f64 v[50:51], v[56:57], v[0:1], v[50:51]
	v_div_scale_f64 v[56:57], null, v[0:1], v[0:1], v[50:51]
	s_delay_alu instid0(VALU_DEP_1) | instskip(SKIP_1) | instid1(TRANS32_DEP_1)
	v_rcp_f64_e32 v[58:59], v[56:57]
	v_nop
	v_fma_f64 v[60:61], -v[56:57], v[58:59], 1.0
	s_delay_alu instid0(VALU_DEP_1) | instskip(NEXT) | instid1(VALU_DEP_1)
	v_fmac_f64_e32 v[58:59], v[58:59], v[60:61]
	v_fma_f64 v[60:61], -v[56:57], v[58:59], 1.0
	s_delay_alu instid0(VALU_DEP_1) | instskip(SKIP_1) | instid1(VALU_DEP_1)
	v_fmac_f64_e32 v[58:59], v[58:59], v[60:61]
	v_div_scale_f64 v[60:61], vcc_lo, v[50:51], v[0:1], v[50:51]
	v_mul_f64_e32 v[62:63], v[60:61], v[58:59]
	s_delay_alu instid0(VALU_DEP_1) | instskip(NEXT) | instid1(VALU_DEP_1)
	v_fma_f64 v[56:57], -v[56:57], v[62:63], v[60:61]
	v_div_fmas_f64 v[56:57], v[56:57], v[58:59], v[62:63]
	v_fma_f64 v[58:59], -v[54:55], v[2:3], v[46:47]
	s_delay_alu instid0(VALU_DEP_2) | instskip(NEXT) | instid1(VALU_DEP_1)
	v_div_fixup_f64 v[50:51], v[56:57], v[0:1], v[50:51]
	v_add_f64_e64 v[60:61], v[58:59], -v[50:51]
.LBB47_89:                              ;   in Loop: Header=BB47_77 Depth=1
	s_wait_xcnt 0x0
	s_or_b32 exec_lo, exec_lo, s10
.LBB47_90:                              ;   in Loop: Header=BB47_77 Depth=1
	s_delay_alu instid0(SALU_CYCLE_1) | instskip(SKIP_4) | instid1(VALU_DEP_2)
	s_or_b32 exec_lo, exec_lo, s3
	s_wait_loadcnt 0x0
	v_mul_f64_e32 v[50:51], v[0:1], v[2:3]
	v_add_f64_e32 v[58:59], v[0:1], v[2:3]
	s_mov_b32 s3, exec_lo
	v_mul_f64_e32 v[62:63], v[54:55], v[50:51]
	v_mul_f64_e32 v[56:57], v[46:47], v[50:51]
                                        ; implicit-def: $vgpr50_vgpr51
	s_delay_alu instid0(VALU_DEP_2)
	v_fma_f64 v[58:59], v[46:47], v[58:59], -v[62:63]
	v_cmpx_neq_f64_e32 0, v[60:61]
	s_xor_b32 s10, exec_lo, s3
	s_cbranch_execz .LBB47_96
; %bb.91:                               ;   in Loop: Header=BB47_77 Depth=1
	s_delay_alu instid0(VALU_DEP_3) | instskip(NEXT) | instid1(VALU_DEP_1)
	v_mul_f64_e32 v[0:1], -4.0, v[56:57]
	v_mul_f64_e32 v[0:1], v[0:1], v[60:61]
	s_delay_alu instid0(VALU_DEP_1) | instskip(NEXT) | instid1(VALU_DEP_1)
	v_fmac_f64_e32 v[0:1], v[58:59], v[58:59]
	v_cmp_gt_f64_e64 s3, 0x10000000, |v[0:1]|
	s_delay_alu instid0(VALU_DEP_1) | instskip(NEXT) | instid1(VALU_DEP_1)
	v_cndmask_b32_e64 v2, 0, 0x100, s3
	v_ldexp_f64 v[0:1], |v[0:1]|, v2
	s_delay_alu instid0(VALU_DEP_1) | instskip(SKIP_1) | instid1(TRANS32_DEP_1)
	v_rsq_f64_e32 v[2:3], v[0:1]
	v_cmp_class_f64_e64 vcc_lo, v[0:1], 0x260
	v_mul_f64_e32 v[44:45], v[0:1], v[2:3]
	v_mul_f64_e32 v[2:3], 0.5, v[2:3]
	s_delay_alu instid0(VALU_DEP_1) | instskip(NEXT) | instid1(VALU_DEP_1)
	v_fma_f64 v[50:51], -v[2:3], v[44:45], 0.5
	v_fmac_f64_e32 v[44:45], v[44:45], v[50:51]
	v_fmac_f64_e32 v[2:3], v[2:3], v[50:51]
	s_delay_alu instid0(VALU_DEP_2) | instskip(NEXT) | instid1(VALU_DEP_1)
	v_fma_f64 v[50:51], -v[44:45], v[44:45], v[0:1]
	v_fmac_f64_e32 v[44:45], v[50:51], v[2:3]
	s_delay_alu instid0(VALU_DEP_1) | instskip(NEXT) | instid1(VALU_DEP_1)
	v_fma_f64 v[50:51], -v[44:45], v[44:45], v[0:1]
	v_fmac_f64_e32 v[44:45], v[50:51], v[2:3]
	v_cndmask_b32_e64 v2, 0, 0xffffff80, s3
	v_cmp_ge_f64_e64 s3, 0, v[58:59]
                                        ; implicit-def: $vgpr50_vgpr51
	s_delay_alu instid0(VALU_DEP_2) | instskip(NEXT) | instid1(VALU_DEP_1)
	v_ldexp_f64 v[2:3], v[44:45], v2
	v_dual_cndmask_b32 v1, v3, v1 :: v_dual_cndmask_b32 v0, v2, v0
	s_and_saveexec_b32 s11, s3
	s_delay_alu instid0(SALU_CYCLE_1)
	s_xor_b32 s3, exec_lo, s11
	s_cbranch_execz .LBB47_93
; %bb.92:                               ;   in Loop: Header=BB47_77 Depth=1
	s_delay_alu instid0(VALU_DEP_1) | instskip(SKIP_1) | instid1(VALU_DEP_1)
	v_add_f64_e64 v[0:1], v[58:59], -v[0:1]
	v_add_f64_e32 v[2:3], v[60:61], v[60:61]
                                        ; implicit-def: $vgpr58_vgpr59
	v_div_scale_f64 v[44:45], null, v[2:3], v[2:3], v[0:1]
	s_delay_alu instid0(VALU_DEP_1) | instskip(SKIP_1) | instid1(TRANS32_DEP_1)
	v_rcp_f64_e32 v[50:51], v[44:45]
	v_nop
	v_fma_f64 v[52:53], -v[44:45], v[50:51], 1.0
	s_delay_alu instid0(VALU_DEP_1) | instskip(NEXT) | instid1(VALU_DEP_1)
	v_fmac_f64_e32 v[50:51], v[50:51], v[52:53]
	v_fma_f64 v[52:53], -v[44:45], v[50:51], 1.0
	s_delay_alu instid0(VALU_DEP_1) | instskip(SKIP_1) | instid1(VALU_DEP_1)
	v_fmac_f64_e32 v[50:51], v[50:51], v[52:53]
	v_div_scale_f64 v[52:53], vcc_lo, v[0:1], v[2:3], v[0:1]
	v_mul_f64_e32 v[56:57], v[52:53], v[50:51]
	s_delay_alu instid0(VALU_DEP_1) | instskip(NEXT) | instid1(VALU_DEP_1)
	v_fma_f64 v[44:45], -v[44:45], v[56:57], v[52:53]
	v_div_fmas_f64 v[44:45], v[44:45], v[50:51], v[56:57]
                                        ; implicit-def: $vgpr56_vgpr57
	s_delay_alu instid0(VALU_DEP_1)
	v_div_fixup_f64 v[50:51], v[44:45], v[2:3], v[0:1]
                                        ; implicit-def: $vgpr0_vgpr1
.LBB47_93:                              ;   in Loop: Header=BB47_77 Depth=1
	s_and_not1_saveexec_b32 s3, s3
	s_cbranch_execz .LBB47_95
; %bb.94:                               ;   in Loop: Header=BB47_77 Depth=1
	v_add_f64_e32 v[2:3], v[56:57], v[56:57]
	v_add_f64_e32 v[0:1], v[58:59], v[0:1]
	s_delay_alu instid0(VALU_DEP_1) | instskip(NEXT) | instid1(VALU_DEP_1)
	v_div_scale_f64 v[44:45], null, v[0:1], v[0:1], v[2:3]
	v_rcp_f64_e32 v[50:51], v[44:45]
	v_nop
	s_delay_alu instid0(TRANS32_DEP_1) | instskip(NEXT) | instid1(VALU_DEP_1)
	v_fma_f64 v[52:53], -v[44:45], v[50:51], 1.0
	v_fmac_f64_e32 v[50:51], v[50:51], v[52:53]
	s_delay_alu instid0(VALU_DEP_1) | instskip(NEXT) | instid1(VALU_DEP_1)
	v_fma_f64 v[52:53], -v[44:45], v[50:51], 1.0
	v_fmac_f64_e32 v[50:51], v[50:51], v[52:53]
	v_div_scale_f64 v[52:53], vcc_lo, v[2:3], v[0:1], v[2:3]
	s_delay_alu instid0(VALU_DEP_1) | instskip(NEXT) | instid1(VALU_DEP_1)
	v_mul_f64_e32 v[56:57], v[52:53], v[50:51]
	v_fma_f64 v[44:45], -v[44:45], v[56:57], v[52:53]
	s_delay_alu instid0(VALU_DEP_1) | instskip(NEXT) | instid1(VALU_DEP_1)
	v_div_fmas_f64 v[44:45], v[44:45], v[50:51], v[56:57]
	v_div_fixup_f64 v[50:51], v[44:45], v[0:1], v[2:3]
.LBB47_95:                              ;   in Loop: Header=BB47_77 Depth=1
	s_or_b32 exec_lo, exec_lo, s3
                                        ; implicit-def: $vgpr58_vgpr59
                                        ; implicit-def: $vgpr56_vgpr57
                                        ; implicit-def: $vgpr0_vgpr1
                                        ; implicit-def: $vgpr52_vgpr53
                                        ; implicit-def: $vgpr44_vgpr45
.LBB47_96:                              ;   in Loop: Header=BB47_77 Depth=1
	s_and_not1_saveexec_b32 s3, s10
	s_cbranch_execz .LBB47_108
; %bb.97:                               ;   in Loop: Header=BB47_77 Depth=1
	s_mov_b32 s10, exec_lo
	s_delay_alu instid0(VALU_DEP_2)
	v_cmpx_eq_f64_e32 0, v[58:59]
	s_cbranch_execz .LBB47_107
; %bb.98:                               ;   in Loop: Header=BB47_77 Depth=1
                                        ; implicit-def: $vgpr58_vgpr59
	s_and_saveexec_b32 s11, s4
	s_delay_alu instid0(SALU_CYCLE_1)
	s_xor_b32 s4, exec_lo, s11
	s_cbranch_execz .LBB47_100
; %bb.99:                               ;   in Loop: Header=BB47_77 Depth=1
	v_mul_f64_e32 v[2:3], v[2:3], v[2:3]
	v_mul_f64_e32 v[0:1], v[0:1], v[0:1]
	s_delay_alu instid0(VALU_DEP_2) | instskip(NEXT) | instid1(VALU_DEP_1)
	v_mul_f64_e32 v[58:59], v[2:3], v[52:53]
                                        ; implicit-def: $vgpr52_vgpr53
	v_fmac_f64_e32 v[58:59], v[0:1], v[44:45]
                                        ; implicit-def: $vgpr2_vgpr3
                                        ; implicit-def: $vgpr44_vgpr45
.LBB47_100:                             ;   in Loop: Header=BB47_77 Depth=1
	s_and_not1_saveexec_b32 s4, s4
	s_cbranch_execz .LBB47_106
; %bb.101:                              ;   in Loop: Header=BB47_77 Depth=1
	v_add_f64_e32 v[44:45], v[44:45], v[52:53]
                                        ; implicit-def: $vgpr58_vgpr59
	s_and_saveexec_b32 s11, s0
	s_delay_alu instid0(SALU_CYCLE_1)
	s_xor_b32 s11, exec_lo, s11
	s_cbranch_execz .LBB47_103
; %bb.102:                              ;   in Loop: Header=BB47_77 Depth=1
	global_load_b64 v[2:3], v[20:21], off offset:8
	v_mul_f64_e32 v[0:1], v[0:1], v[0:1]
	s_wait_loadcnt 0x0
	v_mul_f64_e32 v[58:59], v[2:3], v[2:3]
                                        ; implicit-def: $vgpr2_vgpr3
	s_delay_alu instid0(VALU_DEP_1)
	v_fmac_f64_e32 v[58:59], v[0:1], v[44:45]
                                        ; implicit-def: $vgpr44_vgpr45
.LBB47_103:                             ;   in Loop: Header=BB47_77 Depth=1
	s_wait_xcnt 0x0
	s_and_not1_saveexec_b32 s11, s11
	s_cbranch_execz .LBB47_105
; %bb.104:                              ;   in Loop: Header=BB47_77 Depth=1
	global_load_b64 v[0:1], v[20:21], off
	s_wait_loadcnt 0x0
	v_mul_f64_e32 v[58:59], v[0:1], v[0:1]
	v_mul_f64_e32 v[0:1], v[2:3], v[2:3]
	s_delay_alu instid0(VALU_DEP_1)
	v_fmac_f64_e32 v[58:59], v[0:1], v[44:45]
.LBB47_105:                             ;   in Loop: Header=BB47_77 Depth=1
	s_wait_xcnt 0x0
	s_or_b32 exec_lo, exec_lo, s11
.LBB47_106:                             ;   in Loop: Header=BB47_77 Depth=1
	s_delay_alu instid0(SALU_CYCLE_1)
	s_or_b32 exec_lo, exec_lo, s4
.LBB47_107:                             ;   in Loop: Header=BB47_77 Depth=1
	s_delay_alu instid0(SALU_CYCLE_1) | instskip(NEXT) | instid1(VALU_DEP_1)
	s_or_b32 exec_lo, exec_lo, s10
	v_div_scale_f64 v[0:1], null, v[58:59], v[58:59], v[56:57]
	s_delay_alu instid0(VALU_DEP_1) | instskip(SKIP_1) | instid1(TRANS32_DEP_1)
	v_rcp_f64_e32 v[2:3], v[0:1]
	v_nop
	v_fma_f64 v[44:45], -v[0:1], v[2:3], 1.0
	s_delay_alu instid0(VALU_DEP_1) | instskip(NEXT) | instid1(VALU_DEP_1)
	v_fmac_f64_e32 v[2:3], v[2:3], v[44:45]
	v_fma_f64 v[44:45], -v[0:1], v[2:3], 1.0
	s_delay_alu instid0(VALU_DEP_1) | instskip(SKIP_1) | instid1(VALU_DEP_1)
	v_fmac_f64_e32 v[2:3], v[2:3], v[44:45]
	v_div_scale_f64 v[44:45], vcc_lo, v[56:57], v[58:59], v[56:57]
	v_mul_f64_e32 v[50:51], v[44:45], v[2:3]
	s_delay_alu instid0(VALU_DEP_1) | instskip(NEXT) | instid1(VALU_DEP_1)
	v_fma_f64 v[0:1], -v[0:1], v[50:51], v[44:45]
	v_div_fmas_f64 v[0:1], v[0:1], v[2:3], v[50:51]
	s_delay_alu instid0(VALU_DEP_1)
	v_div_fixup_f64 v[50:51], v[0:1], v[58:59], v[56:57]
.LBB47_108:                             ;   in Loop: Header=BB47_77 Depth=1
	s_or_b32 exec_lo, exec_lo, s3
	s_delay_alu instid0(VALU_DEP_1) | instskip(SKIP_1) | instid1(VALU_DEP_1)
	v_mul_f64_e32 v[0:1], v[46:47], v[50:51]
	s_mov_b32 s3, exec_lo
	v_cmpx_le_f64_e32 0, v[0:1]
	s_cbranch_execz .LBB47_110
; %bb.109:                              ;   in Loop: Header=BB47_77 Depth=1
	v_div_scale_f64 v[0:1], null, v[54:55], v[54:55], -v[46:47]
	s_delay_alu instid0(VALU_DEP_1) | instskip(SKIP_1) | instid1(TRANS32_DEP_1)
	v_rcp_f64_e32 v[2:3], v[0:1]
	v_nop
	v_fma_f64 v[44:45], -v[0:1], v[2:3], 1.0
	s_delay_alu instid0(VALU_DEP_1) | instskip(NEXT) | instid1(VALU_DEP_1)
	v_fmac_f64_e32 v[2:3], v[2:3], v[44:45]
	v_fma_f64 v[44:45], -v[0:1], v[2:3], 1.0
	s_delay_alu instid0(VALU_DEP_1) | instskip(SKIP_1) | instid1(VALU_DEP_1)
	v_fmac_f64_e32 v[2:3], v[2:3], v[44:45]
	v_div_scale_f64 v[44:45], vcc_lo, -v[46:47], v[54:55], -v[46:47]
	v_mul_f64_e32 v[50:51], v[44:45], v[2:3]
	s_delay_alu instid0(VALU_DEP_1) | instskip(NEXT) | instid1(VALU_DEP_1)
	v_fma_f64 v[0:1], -v[0:1], v[50:51], v[44:45]
	v_div_fmas_f64 v[0:1], v[0:1], v[2:3], v[50:51]
	s_delay_alu instid0(VALU_DEP_1)
	v_div_fixup_f64 v[50:51], v[0:1], v[54:55], -v[46:47]
.LBB47_110:                             ;   in Loop: Header=BB47_77 Depth=1
	s_or_b32 exec_lo, exec_lo, s3
	v_cmp_lt_f64_e32 vcc_lo, v[38:39], v[34:35]
	v_cmp_lt_f64_e64 s3, 0, v[46:47]
	v_cmp_lt_f64_e64 s4, v[34:35], v[40:41]
	s_delay_alu instid0(VALU_DEP_4) | instskip(SKIP_3) | instid1(SALU_CYCLE_1)
	v_add_f64_e32 v[0:1], v[34:35], v[50:51]
	v_dual_cndmask_b32 v2, v38, v34 :: v_dual_cndmask_b32 v3, v39, v35
	v_cmp_nge_f64_e32 vcc_lo, 0, v[46:47]
	s_and_b32 s3, s3, s4
	v_dual_cndmask_b32 v41, v41, v35, s3 :: v_dual_cndmask_b32 v40, v40, v34, s3
	s_delay_alu instid0(VALU_DEP_3) | instskip(NEXT) | instid1(VALU_DEP_2)
	v_dual_cndmask_b32 v39, v3, v39 :: v_dual_cndmask_b32 v38, v2, v38
	v_cmp_gt_f64_e32 vcc_lo, v[0:1], v[40:41]
	s_delay_alu instid0(VALU_DEP_2) | instskip(SKIP_1) | instid1(SALU_CYCLE_1)
	v_cmp_lt_f64_e64 s3, v[0:1], v[38:39]
	s_or_b32 s4, vcc_lo, s3
	s_and_saveexec_b32 s3, s4
	s_cbranch_execz .LBB47_116
; %bb.111:                              ;   in Loop: Header=BB47_77 Depth=1
	s_mov_b32 s4, exec_lo
                                        ; implicit-def: $vgpr50_vgpr51
	v_cmpx_ngt_f64_e32 0, v[46:47]
	s_xor_b32 s4, exec_lo, s4
	s_cbranch_execz .LBB47_113
; %bb.112:                              ;   in Loop: Header=BB47_77 Depth=1
	v_add_f64_e64 v[0:1], v[38:39], -v[34:35]
	s_delay_alu instid0(VALU_DEP_1)
	v_mul_f64_e32 v[50:51], 0.5, v[0:1]
.LBB47_113:                             ;   in Loop: Header=BB47_77 Depth=1
	s_and_not1_saveexec_b32 s4, s4
	s_cbranch_execz .LBB47_115
; %bb.114:                              ;   in Loop: Header=BB47_77 Depth=1
	v_add_f64_e64 v[0:1], v[40:41], -v[34:35]
	s_delay_alu instid0(VALU_DEP_1)
	v_mul_f64_e32 v[50:51], 0.5, v[0:1]
.LBB47_115:                             ;   in Loop: Header=BB47_77 Depth=1
	s_or_b32 exec_lo, exec_lo, s4
.LBB47_116:                             ;   in Loop: Header=BB47_77 Depth=1
	s_delay_alu instid0(SALU_CYCLE_1) | instskip(NEXT) | instid1(VALU_DEP_1)
	s_or_b32 exec_lo, exec_lo, s3
	v_add_f64_e64 v[48:49], v[48:49], -v[50:51]
	v_mov_b64_e32 v[44:45], 0
	v_mov_b64_e32 v[0:1], 0
	;; [unrolled: 1-line block ×3, first 2 shown]
	global_store_b64 v[28:29], v[48:49], off
	s_wait_xcnt 0x0
	s_and_saveexec_b32 s3, s2
	s_cbranch_execz .LBB47_120
; %bb.117:                              ;   in Loop: Header=BB47_77 Depth=1
	v_mov_b64_e32 v[44:45], 0
	v_mov_b64_e32 v[48:49], v[12:13]
	;; [unrolled: 1-line block ×5, first 2 shown]
	v_mov_b32_e32 v15, v18
	s_mov_b32 s4, 0
.LBB47_118:                             ;   Parent Loop BB47_77 Depth=1
                                        ; =>  This Inner Loop Header: Depth=2
	global_load_b64 v[54:55], v[52:53], off
	v_add_nc_u32_e32 v15, -1, v15
	s_wait_loadcnt 0x0
	v_add_f64_e64 v[54:55], v[54:55], -v[50:51]
	global_store_b64 v[52:53], v[54:55], off
	global_load_b64 v[56:57], v[48:49], off
	s_wait_xcnt 0x1
	v_add_nc_u64_e32 v[52:53], 8, v[52:53]
	s_wait_xcnt 0x0
	v_add_nc_u64_e32 v[48:49], 8, v[48:49]
	s_wait_loadcnt 0x0
	v_div_scale_f64 v[58:59], null, v[54:55], v[54:55], v[56:57]
	v_div_scale_f64 v[64:65], vcc_lo, v[56:57], v[54:55], v[56:57]
	s_delay_alu instid0(VALU_DEP_2) | instskip(SKIP_1) | instid1(TRANS32_DEP_1)
	v_rcp_f64_e32 v[60:61], v[58:59]
	v_nop
	v_fma_f64 v[62:63], -v[58:59], v[60:61], 1.0
	s_delay_alu instid0(VALU_DEP_1) | instskip(NEXT) | instid1(VALU_DEP_1)
	v_fmac_f64_e32 v[60:61], v[60:61], v[62:63]
	v_fma_f64 v[62:63], -v[58:59], v[60:61], 1.0
	s_delay_alu instid0(VALU_DEP_1) | instskip(NEXT) | instid1(VALU_DEP_1)
	v_fmac_f64_e32 v[60:61], v[60:61], v[62:63]
	v_mul_f64_e32 v[62:63], v[64:65], v[60:61]
	s_delay_alu instid0(VALU_DEP_1) | instskip(NEXT) | instid1(VALU_DEP_1)
	v_fma_f64 v[58:59], -v[58:59], v[62:63], v[64:65]
	v_div_fmas_f64 v[58:59], v[58:59], v[60:61], v[62:63]
	v_cmp_eq_u32_e32 vcc_lo, 0, v15
	s_or_b32 s4, vcc_lo, s4
	s_delay_alu instid0(VALU_DEP_2) | instskip(NEXT) | instid1(VALU_DEP_1)
	v_div_fixup_f64 v[54:55], v[58:59], v[54:55], v[56:57]
	v_fmac_f64_e32 v[2:3], v[56:57], v[54:55]
	v_fmac_f64_e32 v[44:45], v[54:55], v[54:55]
	s_delay_alu instid0(VALU_DEP_2)
	v_add_f64_e32 v[0:1], v[0:1], v[2:3]
	s_and_not1_b32 exec_lo, exec_lo, s4
	s_cbranch_execnz .LBB47_118
; %bb.119:                              ;   in Loop: Header=BB47_77 Depth=1
	s_or_b32 exec_lo, exec_lo, s4
	s_delay_alu instid0(VALU_DEP_1)
	v_and_b32_e32 v1, 0x7fffffff, v1
.LBB47_120:                             ;   in Loop: Header=BB47_77 Depth=1
	s_or_b32 exec_lo, exec_lo, s3
	v_mov_b64_e32 v[52:53], 0
	v_mov_b64_e32 v[54:55], 0
	s_and_saveexec_b32 s3, s1
	s_cbranch_execz .LBB47_75
; %bb.121:                              ;   in Loop: Header=BB47_77 Depth=1
	v_mov_b64_e32 v[52:53], 0
	v_mov_b64_e32 v[48:49], v[42:43]
	;; [unrolled: 1-line block ×4, first 2 shown]
	v_mov_b32_e32 v15, v14
	s_mov_b32 s4, 0
.LBB47_122:                             ;   Parent Loop BB47_77 Depth=1
                                        ; =>  This Inner Loop Header: Depth=2
	global_load_b64 v[58:59], v[56:57], off
	v_add_nc_u32_e32 v15, -1, v15
	s_wait_loadcnt 0x0
	v_add_f64_e64 v[58:59], v[58:59], -v[50:51]
	global_store_b64 v[56:57], v[58:59], off
	global_load_b64 v[60:61], v[48:49], off
	s_wait_xcnt 0x1
	v_add_nc_u64_e32 v[56:57], -8, v[56:57]
	s_wait_xcnt 0x0
	v_add_nc_u64_e32 v[48:49], -8, v[48:49]
	s_wait_loadcnt 0x0
	v_div_scale_f64 v[62:63], null, v[58:59], v[58:59], v[60:61]
	v_div_scale_f64 v[68:69], vcc_lo, v[60:61], v[58:59], v[60:61]
	s_delay_alu instid0(VALU_DEP_2) | instskip(SKIP_1) | instid1(TRANS32_DEP_1)
	v_rcp_f64_e32 v[64:65], v[62:63]
	v_nop
	v_fma_f64 v[66:67], -v[62:63], v[64:65], 1.0
	s_delay_alu instid0(VALU_DEP_1) | instskip(NEXT) | instid1(VALU_DEP_1)
	v_fmac_f64_e32 v[64:65], v[64:65], v[66:67]
	v_fma_f64 v[66:67], -v[62:63], v[64:65], 1.0
	s_delay_alu instid0(VALU_DEP_1) | instskip(NEXT) | instid1(VALU_DEP_1)
	v_fmac_f64_e32 v[64:65], v[64:65], v[66:67]
	v_mul_f64_e32 v[66:67], v[68:69], v[64:65]
	s_delay_alu instid0(VALU_DEP_1) | instskip(NEXT) | instid1(VALU_DEP_1)
	v_fma_f64 v[62:63], -v[62:63], v[66:67], v[68:69]
	v_div_fmas_f64 v[62:63], v[62:63], v[64:65], v[66:67]
	v_cmp_le_i32_e32 vcc_lo, v15, v18
	s_or_b32 s4, vcc_lo, s4
	s_delay_alu instid0(VALU_DEP_2) | instskip(NEXT) | instid1(VALU_DEP_1)
	v_div_fixup_f64 v[58:59], v[62:63], v[58:59], v[60:61]
	v_fmac_f64_e32 v[54:55], v[60:61], v[58:59]
	v_fmac_f64_e32 v[52:53], v[58:59], v[58:59]
	s_delay_alu instid0(VALU_DEP_2)
	v_add_f64_e32 v[0:1], v[0:1], v[54:55]
	s_and_not1_b32 exec_lo, exec_lo, s4
	s_cbranch_execnz .LBB47_122
; %bb.123:                              ;   in Loop: Header=BB47_77 Depth=1
	s_or_b32 exec_lo, exec_lo, s4
	s_branch .LBB47_75
.LBB47_124:
	s_or_b32 exec_lo, exec_lo, s5
	v_add_f64_e32 v[2:3], v[26:27], v[34:35]
.LBB47_125:
	s_or_b32 exec_lo, exec_lo, s7
                                        ; implicit-def: $vgpr16_vgpr17
                                        ; implicit-def: $vgpr10_vgpr11
                                        ; implicit-def: $vgpr12_vgpr13
                                        ; implicit-def: $vgpr8_vgpr9
                                        ; implicit-def: $vgpr0
                                        ; implicit-def: $vgpr22
.LBB47_126:
	s_and_not1_saveexec_b32 s3, s24
	s_cbranch_execz .LBB47_196
; %bb.127:
	v_ashrrev_i32_e32 v23, 31, v22
	s_wait_loadcnt 0x0
	v_fma_f64 v[18:19], |v[6:7]|, 0.5, v[16:17]
	v_mov_b64_e32 v[26:27], 0
	s_mov_b32 s0, exec_lo
	v_lshl_add_u64 v[2:3], v[22:23], 3, v[8:9]
	global_load_b64 v[20:21], v[2:3], off offset:-16
	s_wait_xcnt 0x0
	v_cmpx_lt_i32_e32 2, v22
	s_cbranch_execz .LBB47_131
; %bb.128:
	v_mov_b64_e32 v[26:27], 0
	v_mov_b64_e32 v[14:15], v[12:13]
	;; [unrolled: 1-line block ×3, first 2 shown]
	v_add_nc_u32_e32 v28, -2, v22
	s_mov_b32 s1, 0
.LBB47_129:                             ; =>This Inner Loop Header: Depth=1
	global_load_b64 v[30:31], v[24:25], off
	global_load_b64 v[32:33], v[14:15], off
	s_wait_xcnt 0x1
	v_add_nc_u64_e32 v[24:25], 8, v[24:25]
	s_wait_xcnt 0x0
	v_add_nc_u64_e32 v[14:15], 8, v[14:15]
	s_wait_loadcnt 0x1
	v_dual_add_f64 v[30:31], v[30:31], -v[18:19] :: v_dual_add_nc_u32 v28, -1, v28
	s_wait_loadcnt 0x0
	s_delay_alu instid0(VALU_DEP_1) | instskip(SKIP_1) | instid1(VALU_DEP_2)
	v_div_scale_f64 v[34:35], null, v[30:31], v[30:31], v[32:33]
	v_div_scale_f64 v[40:41], vcc_lo, v[32:33], v[30:31], v[32:33]
	v_rcp_f64_e32 v[36:37], v[34:35]
	v_nop
	s_delay_alu instid0(TRANS32_DEP_1) | instskip(NEXT) | instid1(VALU_DEP_1)
	v_fma_f64 v[38:39], -v[34:35], v[36:37], 1.0
	v_fmac_f64_e32 v[36:37], v[36:37], v[38:39]
	s_delay_alu instid0(VALU_DEP_1) | instskip(NEXT) | instid1(VALU_DEP_1)
	v_fma_f64 v[38:39], -v[34:35], v[36:37], 1.0
	v_fmac_f64_e32 v[36:37], v[36:37], v[38:39]
	s_delay_alu instid0(VALU_DEP_1) | instskip(NEXT) | instid1(VALU_DEP_1)
	v_mul_f64_e32 v[38:39], v[40:41], v[36:37]
	v_fma_f64 v[34:35], -v[34:35], v[38:39], v[40:41]
	s_delay_alu instid0(VALU_DEP_1) | instskip(SKIP_2) | instid1(VALU_DEP_2)
	v_div_fmas_f64 v[34:35], v[34:35], v[36:37], v[38:39]
	v_cmp_eq_u32_e32 vcc_lo, 0, v28
	s_or_b32 s1, vcc_lo, s1
	v_div_fixup_f64 v[30:31], v[34:35], v[30:31], v[32:33]
	s_delay_alu instid0(VALU_DEP_1)
	v_fmac_f64_e32 v[26:27], v[32:33], v[30:31]
	s_and_not1_b32 exec_lo, exec_lo, s1
	s_cbranch_execnz .LBB47_129
; %bb.130:
	s_or_b32 exec_lo, exec_lo, s1
.LBB47_131:
	s_delay_alu instid0(SALU_CYCLE_1)
	s_or_b32 exec_lo, exec_lo, s0
	v_lshl_add_u64 v[14:15], v[22:23], 3, v[12:13]
	v_and_b32_e32 v25, 0x7fffffff, v7
	s_wait_loadcnt 0x0
	v_dual_add_f64 v[38:39], v[20:21], -v[18:19] :: v_dual_mov_b32 v24, v6
	v_mul_f64_e64 v[28:29], |v[6:7]|, 0.5
	global_load_b64 v[30:31], v[14:15], off offset:-16
	s_wait_xcnt 0x0
	v_lshl_add_u64 v[14:15], v[0:1], 3, v[12:13]
	v_div_scale_f64 v[36:37], null, v[24:25], v[24:25], 1.0
	global_load_b64 v[34:35], v[14:15], off
	v_rcp_f64_e32 v[18:19], v[36:37]
	v_nop
	s_delay_alu instid0(TRANS32_DEP_1) | instskip(NEXT) | instid1(VALU_DEP_1)
	v_fma_f64 v[42:43], -v[36:37], v[18:19], 1.0
	v_fmac_f64_e32 v[18:19], v[18:19], v[42:43]
	s_delay_alu instid0(VALU_DEP_1) | instskip(NEXT) | instid1(VALU_DEP_1)
	v_fma_f64 v[44:45], -v[36:37], v[18:19], 1.0
	v_fmac_f64_e32 v[18:19], v[18:19], v[44:45]
	s_wait_loadcnt 0x1
	v_mul_f64_e32 v[32:33], v[30:31], v[30:31]
	s_wait_loadcnt 0x0
	v_mul_f64_e32 v[34:35], v[34:35], v[34:35]
	s_delay_alu instid0(VALU_DEP_2) | instskip(SKIP_1) | instid1(VALU_DEP_2)
	v_div_scale_f64 v[30:31], null, v[38:39], v[38:39], v[32:33]
	v_div_scale_f64 v[48:49], s0, v[32:33], v[38:39], v[32:33]
	v_rcp_f64_e32 v[40:41], v[30:31]
	v_nop
	s_delay_alu instid0(TRANS32_DEP_1) | instskip(NEXT) | instid1(VALU_DEP_1)
	v_fma_f64 v[42:43], -v[30:31], v[40:41], 1.0
	v_fmac_f64_e32 v[40:41], v[40:41], v[42:43]
	v_div_scale_f64 v[42:43], vcc_lo, 1.0, v[24:25], 1.0
	s_delay_alu instid0(VALU_DEP_2) | instskip(NEXT) | instid1(VALU_DEP_2)
	v_fma_f64 v[44:45], -v[30:31], v[40:41], 1.0
	v_mul_f64_e32 v[46:47], v[42:43], v[18:19]
	s_delay_alu instid0(VALU_DEP_2) | instskip(NEXT) | instid1(VALU_DEP_2)
	v_fmac_f64_e32 v[40:41], v[40:41], v[44:45]
	v_fma_f64 v[36:37], -v[36:37], v[46:47], v[42:43]
	s_delay_alu instid0(VALU_DEP_2) | instskip(NEXT) | instid1(VALU_DEP_2)
	v_mul_f64_e32 v[42:43], v[48:49], v[40:41]
	v_div_fmas_f64 v[18:19], v[36:37], v[18:19], v[46:47]
	s_mov_b32 vcc_lo, s0
	s_delay_alu instid0(VALU_DEP_2) | instskip(NEXT) | instid1(VALU_DEP_2)
	v_fma_f64 v[30:31], -v[30:31], v[42:43], v[48:49]
	v_div_fixup_f64 v[18:19], v[18:19], |v[6:7]|, 1.0
	s_delay_alu instid0(VALU_DEP_2) | instskip(NEXT) | instid1(VALU_DEP_2)
	v_div_fmas_f64 v[36:37], v[30:31], v[40:41], v[42:43]
	v_add_f64_e32 v[30:31], v[18:19], v[26:27]
	v_add_f64_e32 v[26:27], v[34:35], v[34:35]
	s_delay_alu instid0(VALU_DEP_3) | instskip(NEXT) | instid1(VALU_DEP_2)
	v_div_fixup_f64 v[36:37], v[36:37], v[38:39], v[32:33]
	v_mul_f64_e32 v[26:27], v[18:19], v[26:27]
	s_delay_alu instid0(VALU_DEP_2) | instskip(NEXT) | instid1(VALU_DEP_1)
	v_add_f64_e32 v[36:37], v[30:31], v[36:37]
	v_cmp_ngt_f64_e32 vcc_lo, v[36:37], v[26:27]
	v_add_f64_e64 v[36:37], v[16:17], -v[20:21]
                                        ; implicit-def: $vgpr20_vgpr21
	s_wait_xcnt 0x0
	s_and_saveexec_b32 s0, vcc_lo
	s_delay_alu instid0(SALU_CYCLE_1)
	s_xor_b32 s1, exec_lo, s0
	s_cbranch_execz .LBB47_139
; %bb.132:
	s_delay_alu instid0(VALU_DEP_1) | instskip(SKIP_1) | instid1(VALU_DEP_2)
	v_add_f64_e64 v[20:21], |v[6:7]|, v[36:37]
	v_div_scale_f64 v[38:39], null, v[24:25], v[24:25], v[34:35]
	v_div_scale_f64 v[26:27], null, v[20:21], v[20:21], v[32:33]
	s_delay_alu instid0(VALU_DEP_2) | instskip(SKIP_1) | instid1(VALU_DEP_2)
	v_rcp_f64_e32 v[42:43], v[38:39]
	v_div_scale_f64 v[48:49], vcc_lo, v[32:33], v[20:21], v[32:33]
	v_rcp_f64_e32 v[40:41], v[26:27]
	s_delay_alu instid0(TRANS32_DEP_2) | instskip(NEXT) | instid1(TRANS32_DEP_1)
	v_fma_f64 v[46:47], -v[38:39], v[42:43], 1.0
	v_fma_f64 v[44:45], -v[26:27], v[40:41], 1.0
	s_delay_alu instid0(VALU_DEP_2) | instskip(NEXT) | instid1(VALU_DEP_2)
	v_fmac_f64_e32 v[42:43], v[42:43], v[46:47]
	v_fmac_f64_e32 v[40:41], v[40:41], v[44:45]
	s_delay_alu instid0(VALU_DEP_2) | instskip(NEXT) | instid1(VALU_DEP_2)
	v_fma_f64 v[46:47], -v[38:39], v[42:43], 1.0
	v_fma_f64 v[44:45], -v[26:27], v[40:41], 1.0
	s_delay_alu instid0(VALU_DEP_2) | instskip(NEXT) | instid1(VALU_DEP_2)
	v_fmac_f64_e32 v[42:43], v[42:43], v[46:47]
	v_fmac_f64_e32 v[40:41], v[40:41], v[44:45]
	v_div_scale_f64 v[44:45], s0, v[34:35], v[24:25], v[34:35]
	s_delay_alu instid0(VALU_DEP_2) | instskip(NEXT) | instid1(VALU_DEP_2)
	v_mul_f64_e32 v[46:47], v[48:49], v[40:41]
	v_mul_f64_e32 v[50:51], v[44:45], v[42:43]
	s_delay_alu instid0(VALU_DEP_2) | instskip(NEXT) | instid1(VALU_DEP_2)
	v_fma_f64 v[26:27], -v[26:27], v[46:47], v[48:49]
	v_fma_f64 v[38:39], -v[38:39], v[50:51], v[44:45]
	s_delay_alu instid0(VALU_DEP_2) | instskip(SKIP_1) | instid1(VALU_DEP_2)
	v_div_fmas_f64 v[26:27], v[26:27], v[40:41], v[46:47]
	s_mov_b32 vcc_lo, s0
	v_div_fmas_f64 v[38:39], v[38:39], v[42:43], v[50:51]
	s_delay_alu instid0(VALU_DEP_2) | instskip(NEXT) | instid1(VALU_DEP_2)
	v_div_fixup_f64 v[20:21], v[26:27], v[20:21], v[32:33]
	v_div_fixup_f64 v[26:27], v[38:39], |v[6:7]|, v[34:35]
	s_delay_alu instid0(VALU_DEP_1) | instskip(NEXT) | instid1(VALU_DEP_1)
	v_add_f64_e32 v[20:21], v[20:21], v[26:27]
	v_cmp_nle_f64_e32 vcc_lo, v[30:31], v[20:21]
	v_mov_b64_e32 v[20:21], v[24:25]
	s_and_saveexec_b32 s2, vcc_lo
	s_cbranch_execz .LBB47_138
; %bb.133:
	v_mul_f64_e32 v[26:27], v[36:37], v[34:35]
	v_fma_f64 v[20:21], -v[36:37], v[30:31], v[32:33]
	s_delay_alu instid0(VALU_DEP_2) | instskip(NEXT) | instid1(VALU_DEP_2)
	v_mul_f64_e32 v[36:37], 4.0, v[26:27]
	v_add_f64_e32 v[32:33], v[34:35], v[20:21]
	s_delay_alu instid0(VALU_DEP_2) | instskip(NEXT) | instid1(VALU_DEP_2)
	v_mul_f64_e32 v[20:21], v[30:31], v[36:37]
	v_cmp_ngt_f64_e64 s0, 0, v[32:33]
	s_delay_alu instid0(VALU_DEP_2) | instskip(NEXT) | instid1(VALU_DEP_1)
	v_fmac_f64_e32 v[20:21], v[32:33], v[32:33]
	v_cmp_gt_f64_e32 vcc_lo, 0x10000000, v[20:21]
	v_cndmask_b32_e64 v1, 0, 0x100, vcc_lo
	s_delay_alu instid0(VALU_DEP_1) | instskip(SKIP_1) | instid1(VALU_DEP_2)
	v_ldexp_f64 v[20:21], v[20:21], v1
	v_cndmask_b32_e64 v1, 0, 0xffffff80, vcc_lo
	v_rsq_f64_e32 v[34:35], v[20:21]
	v_cmp_class_f64_e64 vcc_lo, v[20:21], 0x260
	s_delay_alu instid0(TRANS32_DEP_1) | instskip(SKIP_1) | instid1(VALU_DEP_1)
	v_mul_f64_e32 v[36:37], v[20:21], v[34:35]
	v_mul_f64_e32 v[34:35], 0.5, v[34:35]
	v_fma_f64 v[38:39], -v[34:35], v[36:37], 0.5
	s_delay_alu instid0(VALU_DEP_1) | instskip(SKIP_1) | instid1(VALU_DEP_2)
	v_fmac_f64_e32 v[36:37], v[36:37], v[38:39]
	v_fmac_f64_e32 v[34:35], v[34:35], v[38:39]
	v_fma_f64 v[38:39], -v[36:37], v[36:37], v[20:21]
	s_delay_alu instid0(VALU_DEP_1) | instskip(NEXT) | instid1(VALU_DEP_1)
	v_fmac_f64_e32 v[36:37], v[38:39], v[34:35]
	v_fma_f64 v[38:39], -v[36:37], v[36:37], v[20:21]
	s_delay_alu instid0(VALU_DEP_1) | instskip(NEXT) | instid1(VALU_DEP_1)
	v_fmac_f64_e32 v[36:37], v[38:39], v[34:35]
	v_ldexp_f64 v[34:35], v[36:37], v1
	s_delay_alu instid0(VALU_DEP_1) | instskip(SKIP_1) | instid1(SALU_CYCLE_1)
	v_dual_cndmask_b32 v35, v35, v21 :: v_dual_cndmask_b32 v34, v34, v20
                                        ; implicit-def: $vgpr20_vgpr21
	s_and_saveexec_b32 s4, s0
	s_xor_b32 s0, exec_lo, s4
	s_cbranch_execz .LBB47_135
; %bb.134:
	s_delay_alu instid0(VALU_DEP_1) | instskip(SKIP_1) | instid1(VALU_DEP_1)
	v_add_f64_e32 v[20:21], v[32:33], v[34:35]
	v_add_f64_e32 v[26:27], v[30:31], v[30:31]
	v_div_scale_f64 v[30:31], null, v[26:27], v[26:27], v[20:21]
	s_delay_alu instid0(VALU_DEP_1) | instskip(SKIP_1) | instid1(TRANS32_DEP_1)
	v_rcp_f64_e32 v[32:33], v[30:31]
	v_nop
	v_fma_f64 v[34:35], -v[30:31], v[32:33], 1.0
	s_delay_alu instid0(VALU_DEP_1) | instskip(NEXT) | instid1(VALU_DEP_1)
	v_fmac_f64_e32 v[32:33], v[32:33], v[34:35]
	v_fma_f64 v[34:35], -v[30:31], v[32:33], 1.0
	s_delay_alu instid0(VALU_DEP_1) | instskip(SKIP_1) | instid1(VALU_DEP_1)
	v_fmac_f64_e32 v[32:33], v[32:33], v[34:35]
	v_div_scale_f64 v[34:35], vcc_lo, v[20:21], v[26:27], v[20:21]
	v_mul_f64_e32 v[36:37], v[34:35], v[32:33]
	s_delay_alu instid0(VALU_DEP_1) | instskip(NEXT) | instid1(VALU_DEP_1)
	v_fma_f64 v[30:31], -v[30:31], v[36:37], v[34:35]
                                        ; implicit-def: $vgpr34_vgpr35
	v_div_fmas_f64 v[30:31], v[30:31], v[32:33], v[36:37]
                                        ; implicit-def: $vgpr32_vgpr33
	s_delay_alu instid0(VALU_DEP_1)
	v_div_fixup_f64 v[20:21], v[30:31], v[26:27], v[20:21]
                                        ; implicit-def: $vgpr26_vgpr27
.LBB47_135:
	s_and_not1_saveexec_b32 s0, s0
	s_cbranch_execz .LBB47_137
; %bb.136:
	v_add_f64_e32 v[20:21], v[26:27], v[26:27]
	v_add_f64_e64 v[26:27], v[34:35], -v[32:33]
	s_delay_alu instid0(VALU_DEP_1) | instskip(NEXT) | instid1(VALU_DEP_1)
	v_div_scale_f64 v[30:31], null, v[26:27], v[26:27], v[20:21]
	v_rcp_f64_e32 v[32:33], v[30:31]
	v_nop
	s_delay_alu instid0(TRANS32_DEP_1) | instskip(NEXT) | instid1(VALU_DEP_1)
	v_fma_f64 v[34:35], -v[30:31], v[32:33], 1.0
	v_fmac_f64_e32 v[32:33], v[32:33], v[34:35]
	s_delay_alu instid0(VALU_DEP_1) | instskip(NEXT) | instid1(VALU_DEP_1)
	v_fma_f64 v[34:35], -v[30:31], v[32:33], 1.0
	v_fmac_f64_e32 v[32:33], v[32:33], v[34:35]
	v_div_scale_f64 v[34:35], vcc_lo, v[20:21], v[26:27], v[20:21]
	s_delay_alu instid0(VALU_DEP_1) | instskip(NEXT) | instid1(VALU_DEP_1)
	v_mul_f64_e32 v[36:37], v[34:35], v[32:33]
	v_fma_f64 v[30:31], -v[30:31], v[36:37], v[34:35]
	s_delay_alu instid0(VALU_DEP_1) | instskip(NEXT) | instid1(VALU_DEP_1)
	v_div_fmas_f64 v[30:31], v[30:31], v[32:33], v[36:37]
	v_div_fixup_f64 v[20:21], v[30:31], v[26:27], v[20:21]
.LBB47_137:
	s_or_b32 exec_lo, exec_lo, s0
.LBB47_138:
	s_delay_alu instid0(SALU_CYCLE_1)
	s_or_b32 exec_lo, exec_lo, s2
                                        ; implicit-def: $vgpr36_vgpr37
                                        ; implicit-def: $vgpr30_vgpr31
                                        ; implicit-def: $vgpr32_vgpr33
                                        ; implicit-def: $vgpr34_vgpr35
.LBB47_139:
	s_or_saveexec_b32 s1, s1
	v_mov_b64_e32 v[26:27], v[28:29]
	s_xor_b32 exec_lo, exec_lo, s1
	s_cbranch_execz .LBB47_145
; %bb.140:
	s_delay_alu instid0(VALU_DEP_2) | instskip(SKIP_1) | instid1(VALU_DEP_2)
	v_mul_f64_e32 v[24:25], v[36:37], v[34:35]
	v_fma_f64 v[20:21], -v[36:37], v[30:31], v[32:33]
	v_mul_f64_e32 v[32:33], 4.0, v[24:25]
	s_delay_alu instid0(VALU_DEP_2) | instskip(NEXT) | instid1(VALU_DEP_2)
	v_add_f64_e32 v[26:27], v[34:35], v[20:21]
	v_mul_f64_e32 v[20:21], v[30:31], v[32:33]
	s_delay_alu instid0(VALU_DEP_2) | instskip(NEXT) | instid1(VALU_DEP_2)
	v_cmp_ngt_f64_e64 s0, 0, v[26:27]
	v_fmac_f64_e32 v[20:21], v[26:27], v[26:27]
	s_delay_alu instid0(VALU_DEP_1) | instskip(SKIP_1) | instid1(VALU_DEP_1)
	v_cmp_gt_f64_e32 vcc_lo, 0x10000000, v[20:21]
	v_cndmask_b32_e64 v1, 0, 0x100, vcc_lo
	v_ldexp_f64 v[20:21], v[20:21], v1
	v_cndmask_b32_e64 v1, 0, 0xffffff80, vcc_lo
	s_delay_alu instid0(VALU_DEP_2) | instskip(SKIP_1) | instid1(TRANS32_DEP_1)
	v_rsq_f64_e32 v[32:33], v[20:21]
	v_cmp_class_f64_e64 vcc_lo, v[20:21], 0x260
	v_mul_f64_e32 v[34:35], v[20:21], v[32:33]
	v_mul_f64_e32 v[32:33], 0.5, v[32:33]
	s_delay_alu instid0(VALU_DEP_1) | instskip(NEXT) | instid1(VALU_DEP_1)
	v_fma_f64 v[36:37], -v[32:33], v[34:35], 0.5
	v_fmac_f64_e32 v[34:35], v[34:35], v[36:37]
	v_fmac_f64_e32 v[32:33], v[32:33], v[36:37]
	s_delay_alu instid0(VALU_DEP_2) | instskip(NEXT) | instid1(VALU_DEP_1)
	v_fma_f64 v[36:37], -v[34:35], v[34:35], v[20:21]
	v_fmac_f64_e32 v[34:35], v[36:37], v[32:33]
	s_delay_alu instid0(VALU_DEP_1) | instskip(NEXT) | instid1(VALU_DEP_1)
	v_fma_f64 v[36:37], -v[34:35], v[34:35], v[20:21]
	v_fmac_f64_e32 v[34:35], v[36:37], v[32:33]
	s_delay_alu instid0(VALU_DEP_1) | instskip(NEXT) | instid1(VALU_DEP_1)
	v_ldexp_f64 v[32:33], v[34:35], v1
	v_dual_cndmask_b32 v33, v33, v21 :: v_dual_cndmask_b32 v32, v32, v20
                                        ; implicit-def: $vgpr20_vgpr21
	s_and_saveexec_b32 s2, s0
	s_delay_alu instid0(SALU_CYCLE_1)
	s_xor_b32 s0, exec_lo, s2
	s_cbranch_execz .LBB47_142
; %bb.141:
	s_delay_alu instid0(VALU_DEP_1) | instskip(SKIP_1) | instid1(VALU_DEP_1)
	v_add_f64_e32 v[20:21], v[26:27], v[32:33]
	v_add_f64_e32 v[24:25], v[30:31], v[30:31]
	v_div_scale_f64 v[26:27], null, v[24:25], v[24:25], v[20:21]
	s_delay_alu instid0(VALU_DEP_1) | instskip(SKIP_1) | instid1(TRANS32_DEP_1)
	v_rcp_f64_e32 v[30:31], v[26:27]
	v_nop
	v_fma_f64 v[32:33], -v[26:27], v[30:31], 1.0
	s_delay_alu instid0(VALU_DEP_1) | instskip(NEXT) | instid1(VALU_DEP_1)
	v_fmac_f64_e32 v[30:31], v[30:31], v[32:33]
	v_fma_f64 v[32:33], -v[26:27], v[30:31], 1.0
	s_delay_alu instid0(VALU_DEP_1) | instskip(SKIP_1) | instid1(VALU_DEP_1)
	v_fmac_f64_e32 v[30:31], v[30:31], v[32:33]
	v_div_scale_f64 v[32:33], vcc_lo, v[20:21], v[24:25], v[20:21]
	v_mul_f64_e32 v[34:35], v[32:33], v[30:31]
	s_delay_alu instid0(VALU_DEP_1) | instskip(NEXT) | instid1(VALU_DEP_1)
	v_fma_f64 v[26:27], -v[26:27], v[34:35], v[32:33]
                                        ; implicit-def: $vgpr32_vgpr33
	v_div_fmas_f64 v[26:27], v[26:27], v[30:31], v[34:35]
	s_delay_alu instid0(VALU_DEP_1)
	v_div_fixup_f64 v[20:21], v[26:27], v[24:25], v[20:21]
                                        ; implicit-def: $vgpr24_vgpr25
                                        ; implicit-def: $vgpr26_vgpr27
.LBB47_142:
	s_and_not1_saveexec_b32 s0, s0
	s_cbranch_execz .LBB47_144
; %bb.143:
	v_add_f64_e32 v[20:21], v[24:25], v[24:25]
	v_add_f64_e64 v[24:25], v[32:33], -v[26:27]
	s_delay_alu instid0(VALU_DEP_1) | instskip(NEXT) | instid1(VALU_DEP_1)
	v_div_scale_f64 v[26:27], null, v[24:25], v[24:25], v[20:21]
	v_rcp_f64_e32 v[30:31], v[26:27]
	v_nop
	s_delay_alu instid0(TRANS32_DEP_1) | instskip(NEXT) | instid1(VALU_DEP_1)
	v_fma_f64 v[32:33], -v[26:27], v[30:31], 1.0
	v_fmac_f64_e32 v[30:31], v[30:31], v[32:33]
	s_delay_alu instid0(VALU_DEP_1) | instskip(NEXT) | instid1(VALU_DEP_1)
	v_fma_f64 v[32:33], -v[26:27], v[30:31], 1.0
	v_fmac_f64_e32 v[30:31], v[30:31], v[32:33]
	v_div_scale_f64 v[32:33], vcc_lo, v[20:21], v[24:25], v[20:21]
	s_delay_alu instid0(VALU_DEP_1) | instskip(NEXT) | instid1(VALU_DEP_1)
	v_mul_f64_e32 v[34:35], v[32:33], v[30:31]
	v_fma_f64 v[26:27], -v[26:27], v[34:35], v[32:33]
	s_delay_alu instid0(VALU_DEP_1) | instskip(NEXT) | instid1(VALU_DEP_1)
	v_div_fmas_f64 v[26:27], v[26:27], v[30:31], v[34:35]
	v_div_fixup_f64 v[20:21], v[26:27], v[24:25], v[20:21]
.LBB47_144:
	s_or_b32 exec_lo, exec_lo, s0
	v_mov_b64_e32 v[26:27], 0
	v_mov_b64_e32 v[24:25], v[28:29]
.LBB47_145:
	s_or_b32 exec_lo, exec_lo, s1
	v_cmp_lt_i32_e64 s0, 1, v22
	v_mov_b64_e32 v[22:23], v[16:17]
	s_and_saveexec_b32 s1, s0
	s_cbranch_execz .LBB47_149
; %bb.146:
	v_mov_b64_e32 v[22:23], v[8:9]
	v_mov_b32_e32 v1, v0
	s_mov_b32 s2, 0
.LBB47_147:                             ; =>This Inner Loop Header: Depth=1
	global_load_b64 v[28:29], v[22:23], off
	v_add_nc_u32_e32 v1, -1, v1
	s_delay_alu instid0(VALU_DEP_1)
	v_cmp_eq_u32_e32 vcc_lo, 0, v1
	s_or_b32 s2, vcc_lo, s2
	s_wait_loadcnt 0x0
	v_add_f64_e64 v[28:29], v[28:29], -v[16:17]
	global_store_b64 v[22:23], v[28:29], off
	s_wait_xcnt 0x0
	v_add_nc_u64_e32 v[22:23], 8, v[22:23]
	s_and_not1_b32 exec_lo, exec_lo, s2
	s_cbranch_execnz .LBB47_147
; %bb.148:
	s_or_b32 exec_lo, exec_lo, s2
	global_load_b64 v[22:23], v[10:11], off
.LBB47_149:
	s_wait_xcnt 0x0
	s_or_b32 exec_lo, exec_lo, s1
	s_wait_loadcnt 0x0
	s_delay_alu instid0(VALU_DEP_1)
	v_add_f64_e64 v[30:31], v[22:23], -v[16:17]
	v_mov_b64_e32 v[22:23], 0
	v_mov_b64_e32 v[28:29], 0
	;; [unrolled: 1-line block ×3, first 2 shown]
	global_store_b64 v[10:11], v[30:31], off
	s_wait_xcnt 0x0
	s_and_saveexec_b32 s1, s0
	s_cbranch_execz .LBB47_153
; %bb.150:
	v_mov_b64_e32 v[22:23], 0
	v_mov_b64_e32 v[30:31], v[12:13]
	;; [unrolled: 1-line block ×5, first 2 shown]
	v_mov_b32_e32 v1, v0
	s_mov_b32 s2, 0
.LBB47_151:                             ; =>This Inner Loop Header: Depth=1
	global_load_b64 v[36:37], v[34:35], off
	v_add_nc_u32_e32 v1, -1, v1
	s_wait_loadcnt 0x0
	v_add_f64_e64 v[36:37], v[36:37], -v[20:21]
	global_store_b64 v[34:35], v[36:37], off
	global_load_b64 v[38:39], v[30:31], off
	s_wait_xcnt 0x1
	v_add_nc_u64_e32 v[34:35], 8, v[34:35]
	s_wait_xcnt 0x0
	v_add_nc_u64_e32 v[30:31], 8, v[30:31]
	s_wait_loadcnt 0x0
	v_div_scale_f64 v[40:41], null, v[36:37], v[36:37], v[38:39]
	v_div_scale_f64 v[46:47], vcc_lo, v[38:39], v[36:37], v[38:39]
	s_delay_alu instid0(VALU_DEP_2) | instskip(SKIP_1) | instid1(TRANS32_DEP_1)
	v_rcp_f64_e32 v[42:43], v[40:41]
	v_nop
	v_fma_f64 v[44:45], -v[40:41], v[42:43], 1.0
	s_delay_alu instid0(VALU_DEP_1) | instskip(NEXT) | instid1(VALU_DEP_1)
	v_fmac_f64_e32 v[42:43], v[42:43], v[44:45]
	v_fma_f64 v[44:45], -v[40:41], v[42:43], 1.0
	s_delay_alu instid0(VALU_DEP_1) | instskip(NEXT) | instid1(VALU_DEP_1)
	v_fmac_f64_e32 v[42:43], v[42:43], v[44:45]
	v_mul_f64_e32 v[44:45], v[46:47], v[42:43]
	s_delay_alu instid0(VALU_DEP_1) | instskip(NEXT) | instid1(VALU_DEP_1)
	v_fma_f64 v[40:41], -v[40:41], v[44:45], v[46:47]
	v_div_fmas_f64 v[40:41], v[40:41], v[42:43], v[44:45]
	v_cmp_eq_u32_e32 vcc_lo, 0, v1
	s_or_b32 s2, vcc_lo, s2
	s_delay_alu instid0(VALU_DEP_2) | instskip(NEXT) | instid1(VALU_DEP_1)
	v_div_fixup_f64 v[36:37], v[40:41], v[36:37], v[38:39]
	v_fmac_f64_e32 v[32:33], v[38:39], v[36:37]
	v_fmac_f64_e32 v[22:23], v[36:37], v[36:37]
	s_delay_alu instid0(VALU_DEP_2)
	v_add_f64_e32 v[28:29], v[28:29], v[32:33]
	s_and_not1_b32 exec_lo, exec_lo, s2
	s_cbranch_execnz .LBB47_151
; %bb.152:
	s_or_b32 exec_lo, exec_lo, s2
	global_load_b64 v[30:31], v[10:11], off
	v_and_b32_e32 v29, 0x7fffffff, v29
.LBB47_153:
	s_wait_xcnt 0x0
	s_or_b32 exec_lo, exec_lo, s1
	s_wait_loadcnt 0x0
	v_add_f64_e64 v[30:31], v[30:31], -v[20:21]
	s_mov_b32 s4, exec_lo
	global_store_b64 v[10:11], v[30:31], off
	global_load_b64 v[34:35], v[14:15], off
	s_wait_loadcnt 0x0
	v_div_scale_f64 v[36:37], null, v[30:31], v[30:31], v[34:35]
	s_delay_alu instid0(VALU_DEP_1) | instskip(SKIP_1) | instid1(TRANS32_DEP_1)
	v_rcp_f64_e32 v[38:39], v[36:37]
	v_nop
	v_fma_f64 v[40:41], -v[36:37], v[38:39], 1.0
	s_delay_alu instid0(VALU_DEP_1) | instskip(NEXT) | instid1(VALU_DEP_1)
	v_fmac_f64_e32 v[38:39], v[38:39], v[40:41]
	v_fma_f64 v[40:41], -v[36:37], v[38:39], 1.0
	s_delay_alu instid0(VALU_DEP_1) | instskip(SKIP_1) | instid1(VALU_DEP_1)
	v_fmac_f64_e32 v[38:39], v[38:39], v[40:41]
	v_div_scale_f64 v[40:41], vcc_lo, v[34:35], v[30:31], v[34:35]
	v_mul_f64_e32 v[42:43], v[40:41], v[38:39]
	s_delay_alu instid0(VALU_DEP_1) | instskip(NEXT) | instid1(VALU_DEP_1)
	v_fma_f64 v[36:37], -v[36:37], v[42:43], v[40:41]
	v_div_fmas_f64 v[36:37], v[36:37], v[38:39], v[42:43]
	s_delay_alu instid0(VALU_DEP_1) | instskip(NEXT) | instid1(VALU_DEP_1)
	v_div_fixup_f64 v[36:37], v[36:37], v[30:31], v[34:35]
	v_fma_f64 v[38:39], v[34:35], v[36:37], 0
	v_fma_f64 v[34:35], v[36:37], v[36:37], v[22:23]
	s_delay_alu instid0(VALU_DEP_2) | instskip(SKIP_2) | instid1(VALU_DEP_3)
	v_add_f64_e32 v[40:41], v[32:33], v[38:39]
	v_add_f64_e32 v[28:29], v[28:29], v[38:39]
	;; [unrolled: 1-line block ×3, first 2 shown]
	v_ldexp_f64 v[40:41], -v[40:41], 3
	s_delay_alu instid0(VALU_DEP_1) | instskip(NEXT) | instid1(VALU_DEP_1)
	v_fma_f64 v[40:41], |v[20:21]|, v[34:35], v[40:41]
	v_add_f64_e64 v[40:41], v[40:41], -v[38:39]
	s_delay_alu instid0(VALU_DEP_1) | instskip(NEXT) | instid1(VALU_DEP_1)
	v_add_f64_e32 v[40:41], v[18:19], v[40:41]
	v_add_f64_e32 v[40:41], v[28:29], v[40:41]
	;; [unrolled: 1-line block ×3, first 2 shown]
	s_delay_alu instid0(VALU_DEP_2) | instskip(SKIP_1) | instid1(VALU_DEP_1)
	v_mul_f64_e32 v[32:33], s[14:15], v[40:41]
	s_wait_xcnt 0x0
	v_cmpx_nle_f64_e64 |v[28:29]|, v[32:33]
	s_cbranch_execz .LBB47_195
; %bb.154:
	global_load_b64 v[38:39], v[2:3], off offset:-16
	v_mul_f64_e32 v[32:33], v[36:37], v[36:37]
	v_cmp_lt_f64_e32 vcc_lo, 0, v[28:29]
	v_cmp_lt_f64_e64 s1, v[20:21], v[24:25]
	s_and_b32 vcc_lo, s1, vcc_lo
	s_wait_loadcnt 0x0
	v_fma_f64 v[22:23], -v[22:23], v[38:39], v[28:29]
	s_delay_alu instid0(VALU_DEP_1) | instskip(SKIP_1) | instid1(VALU_DEP_2)
	v_fma_f64 v[36:37], -v[30:31], v[32:33], v[22:23]
	v_dual_cndmask_b32 v23, v25, v21 :: v_dual_cndmask_b32 v22, v24, v20
                                        ; implicit-def: $vgpr32_vgpr33
	v_cmp_neq_f64_e64 s2, 0, v[36:37]
	s_wait_xcnt 0x0
	s_and_saveexec_b32 s1, s2
	s_delay_alu instid0(SALU_CYCLE_1)
	s_xor_b32 s2, exec_lo, s1
	s_cbranch_execz .LBB47_160
; %bb.155:
	v_mul_f64_e32 v[32:33], v[30:31], v[38:39]
	v_add_f64_e32 v[38:39], v[30:31], v[38:39]
	s_delay_alu instid0(VALU_DEP_2) | instskip(SKIP_1) | instid1(VALU_DEP_2)
	v_mul_f64_e32 v[24:25], v[28:29], v[32:33]
	v_mul_f64_e32 v[32:33], v[34:35], v[32:33]
	v_mul_f64_e32 v[40:41], -4.0, v[24:25]
	s_delay_alu instid0(VALU_DEP_2) | instskip(NEXT) | instid1(VALU_DEP_2)
	v_fma_f64 v[38:39], v[28:29], v[38:39], -v[32:33]
	v_mul_f64_e64 v[32:33], v[40:41], |v[36:37]|
	s_delay_alu instid0(VALU_DEP_1) | instskip(NEXT) | instid1(VALU_DEP_1)
	v_fmac_f64_e32 v[32:33], v[38:39], v[38:39]
	v_cmp_gt_f64_e64 s1, 0x10000000, |v[32:33]|
	s_delay_alu instid0(VALU_DEP_1) | instskip(NEXT) | instid1(VALU_DEP_1)
	v_cndmask_b32_e64 v1, 0, 0x100, s1
	v_ldexp_f64 v[32:33], |v[32:33]|, v1
	v_cndmask_b32_e64 v1, 0, 0xffffff80, s1
	v_cmp_le_f64_e64 s1, 0, v[38:39]
	s_delay_alu instid0(VALU_DEP_3) | instskip(SKIP_1) | instid1(TRANS32_DEP_1)
	v_rsq_f64_e32 v[40:41], v[32:33]
	v_cmp_class_f64_e64 vcc_lo, v[32:33], 0x260
	v_mul_f64_e32 v[42:43], v[32:33], v[40:41]
	v_mul_f64_e32 v[40:41], 0.5, v[40:41]
	s_delay_alu instid0(VALU_DEP_1) | instskip(NEXT) | instid1(VALU_DEP_1)
	v_fma_f64 v[44:45], -v[40:41], v[42:43], 0.5
	v_fmac_f64_e32 v[42:43], v[42:43], v[44:45]
	v_fmac_f64_e32 v[40:41], v[40:41], v[44:45]
	s_delay_alu instid0(VALU_DEP_2) | instskip(NEXT) | instid1(VALU_DEP_1)
	v_fma_f64 v[44:45], -v[42:43], v[42:43], v[32:33]
	v_fmac_f64_e32 v[42:43], v[44:45], v[40:41]
	s_delay_alu instid0(VALU_DEP_1) | instskip(NEXT) | instid1(VALU_DEP_1)
	v_fma_f64 v[44:45], -v[42:43], v[42:43], v[32:33]
	v_fmac_f64_e32 v[42:43], v[44:45], v[40:41]
	s_delay_alu instid0(VALU_DEP_1) | instskip(NEXT) | instid1(VALU_DEP_1)
	v_ldexp_f64 v[40:41], v[42:43], v1
	v_dual_cndmask_b32 v41, v41, v33 :: v_dual_cndmask_b32 v40, v40, v32
                                        ; implicit-def: $vgpr32_vgpr33
	s_and_saveexec_b32 s5, s1
	s_delay_alu instid0(SALU_CYCLE_1)
	s_xor_b32 s1, exec_lo, s5
	s_cbranch_execz .LBB47_157
; %bb.156:
	s_delay_alu instid0(VALU_DEP_1) | instskip(SKIP_1) | instid1(VALU_DEP_1)
	v_add_f64_e32 v[24:25], v[38:39], v[40:41]
	v_add_f64_e64 v[32:33], |v[36:37]|, |v[36:37]|
	v_div_scale_f64 v[36:37], null, v[32:33], v[32:33], v[24:25]
	s_delay_alu instid0(VALU_DEP_1) | instskip(SKIP_1) | instid1(TRANS32_DEP_1)
	v_rcp_f64_e32 v[38:39], v[36:37]
	v_nop
	v_fma_f64 v[40:41], -v[36:37], v[38:39], 1.0
	s_delay_alu instid0(VALU_DEP_1) | instskip(NEXT) | instid1(VALU_DEP_1)
	v_fmac_f64_e32 v[38:39], v[38:39], v[40:41]
	v_fma_f64 v[40:41], -v[36:37], v[38:39], 1.0
	s_delay_alu instid0(VALU_DEP_1) | instskip(SKIP_1) | instid1(VALU_DEP_1)
	v_fmac_f64_e32 v[38:39], v[38:39], v[40:41]
	v_div_scale_f64 v[40:41], vcc_lo, v[24:25], v[32:33], v[24:25]
	v_mul_f64_e32 v[42:43], v[40:41], v[38:39]
	s_delay_alu instid0(VALU_DEP_1) | instskip(NEXT) | instid1(VALU_DEP_1)
	v_fma_f64 v[36:37], -v[36:37], v[42:43], v[40:41]
                                        ; implicit-def: $vgpr40_vgpr41
	v_div_fmas_f64 v[36:37], v[36:37], v[38:39], v[42:43]
                                        ; implicit-def: $vgpr38_vgpr39
	s_delay_alu instid0(VALU_DEP_1)
	v_div_fixup_f64 v[32:33], v[36:37], v[32:33], v[24:25]
                                        ; implicit-def: $vgpr24_vgpr25
.LBB47_157:
	s_and_not1_saveexec_b32 s1, s1
	s_cbranch_execz .LBB47_159
; %bb.158:
	v_add_f64_e32 v[24:25], v[24:25], v[24:25]
	v_add_f64_e64 v[32:33], v[38:39], -v[40:41]
	s_delay_alu instid0(VALU_DEP_1) | instskip(NEXT) | instid1(VALU_DEP_1)
	v_div_scale_f64 v[36:37], null, v[32:33], v[32:33], v[24:25]
	v_rcp_f64_e32 v[38:39], v[36:37]
	v_nop
	s_delay_alu instid0(TRANS32_DEP_1) | instskip(NEXT) | instid1(VALU_DEP_1)
	v_fma_f64 v[40:41], -v[36:37], v[38:39], 1.0
	v_fmac_f64_e32 v[38:39], v[38:39], v[40:41]
	s_delay_alu instid0(VALU_DEP_1) | instskip(NEXT) | instid1(VALU_DEP_1)
	v_fma_f64 v[40:41], -v[36:37], v[38:39], 1.0
	v_fmac_f64_e32 v[38:39], v[38:39], v[40:41]
	v_div_scale_f64 v[40:41], vcc_lo, v[24:25], v[32:33], v[24:25]
	s_delay_alu instid0(VALU_DEP_1) | instskip(NEXT) | instid1(VALU_DEP_1)
	v_mul_f64_e32 v[42:43], v[40:41], v[38:39]
	v_fma_f64 v[36:37], -v[36:37], v[42:43], v[40:41]
	s_delay_alu instid0(VALU_DEP_1) | instskip(NEXT) | instid1(VALU_DEP_1)
	v_div_fmas_f64 v[36:37], v[36:37], v[38:39], v[42:43]
	v_div_fixup_f64 v[32:33], v[36:37], v[32:33], v[24:25]
.LBB47_159:
	s_or_b32 exec_lo, exec_lo, s1
.LBB47_160:
	s_and_not1_saveexec_b32 s1, s2
; %bb.161:
	v_add_f64_e64 v[32:33], v[22:23], -v[20:21]
; %bb.162:
	s_or_b32 exec_lo, exec_lo, s1
	s_delay_alu instid0(VALU_DEP_1) | instskip(SKIP_1) | instid1(VALU_DEP_1)
	v_mul_f64_e32 v[24:25], v[28:29], v[32:33]
	s_mov_b32 s1, exec_lo
	v_cmpx_lt_f64_e32 0, v[24:25]
	s_cbranch_execz .LBB47_164
; %bb.163:
	v_div_scale_f64 v[24:25], null, v[34:35], v[34:35], -v[28:29]
	s_delay_alu instid0(VALU_DEP_1) | instskip(SKIP_1) | instid1(TRANS32_DEP_1)
	v_rcp_f64_e32 v[32:33], v[24:25]
	v_nop
	v_fma_f64 v[36:37], -v[24:25], v[32:33], 1.0
	s_delay_alu instid0(VALU_DEP_1) | instskip(NEXT) | instid1(VALU_DEP_1)
	v_fmac_f64_e32 v[32:33], v[32:33], v[36:37]
	v_fma_f64 v[36:37], -v[24:25], v[32:33], 1.0
	s_delay_alu instid0(VALU_DEP_1) | instskip(SKIP_1) | instid1(VALU_DEP_1)
	v_fmac_f64_e32 v[32:33], v[32:33], v[36:37]
	v_div_scale_f64 v[36:37], vcc_lo, -v[28:29], v[34:35], -v[28:29]
	v_mul_f64_e32 v[38:39], v[36:37], v[32:33]
	s_delay_alu instid0(VALU_DEP_1) | instskip(NEXT) | instid1(VALU_DEP_1)
	v_fma_f64 v[24:25], -v[24:25], v[38:39], v[36:37]
	v_div_fmas_f64 v[24:25], v[24:25], v[32:33], v[38:39]
	s_delay_alu instid0(VALU_DEP_1)
	v_div_fixup_f64 v[32:33], v[24:25], v[34:35], -v[28:29]
.LBB47_164:
	s_or_b32 exec_lo, exec_lo, s1
	v_cmp_lt_f64_e32 vcc_lo, v[26:27], v[20:21]
	s_delay_alu instid0(VALU_DEP_2) | instskip(SKIP_2) | instid1(VALU_DEP_2)
	v_add_f64_e32 v[34:35], v[20:21], v[32:33]
	v_dual_cndmask_b32 v1, v26, v20 :: v_dual_cndmask_b32 v24, v27, v21
	v_cmp_nge_f64_e32 vcc_lo, 0, v[28:29]
	v_dual_cndmask_b32 v25, v24, v27 :: v_dual_cndmask_b32 v24, v1, v26
	s_delay_alu instid0(VALU_DEP_4) | instskip(NEXT) | instid1(VALU_DEP_2)
	v_cmp_gt_f64_e32 vcc_lo, v[34:35], v[22:23]
	v_cmp_lt_f64_e64 s1, v[34:35], v[24:25]
	s_or_b32 s2, vcc_lo, s1
	s_delay_alu instid0(SALU_CYCLE_1)
	s_and_saveexec_b32 s1, s2
	s_cbranch_execz .LBB47_170
; %bb.165:
	s_mov_b32 s2, exec_lo
                                        ; implicit-def: $vgpr32_vgpr33
	v_cmpx_ngt_f64_e32 0, v[28:29]
	s_xor_b32 s2, exec_lo, s2
	s_cbranch_execz .LBB47_167
; %bb.166:
	v_add_f64_e64 v[26:27], v[24:25], -v[20:21]
	s_delay_alu instid0(VALU_DEP_1)
	v_mul_f64_e32 v[32:33], 0.5, v[26:27]
.LBB47_167:
	s_and_not1_saveexec_b32 s2, s2
	s_cbranch_execz .LBB47_169
; %bb.168:
	v_add_f64_e64 v[26:27], v[22:23], -v[20:21]
	s_delay_alu instid0(VALU_DEP_1)
	v_mul_f64_e32 v[32:33], 0.5, v[26:27]
.LBB47_169:
	s_or_b32 exec_lo, exec_lo, s2
.LBB47_170:
	s_delay_alu instid0(SALU_CYCLE_1)
	s_or_b32 exec_lo, exec_lo, s1
	v_mov_b64_e32 v[28:29], 0
	v_mov_b64_e32 v[34:35], 0
	;; [unrolled: 1-line block ×3, first 2 shown]
	s_and_saveexec_b32 s1, s0
	s_cbranch_execz .LBB47_174
; %bb.171:
	v_mov_b64_e32 v[28:29], 0
	v_mov_b64_e32 v[26:27], v[12:13]
	;; [unrolled: 1-line block ×5, first 2 shown]
	v_mov_b32_e32 v1, v0
	s_mov_b32 s2, 0
.LBB47_172:                             ; =>This Inner Loop Header: Depth=1
	global_load_b64 v[38:39], v[30:31], off
	v_add_nc_u32_e32 v1, -1, v1
	s_wait_loadcnt 0x0
	v_add_f64_e64 v[38:39], v[38:39], -v[32:33]
	global_store_b64 v[30:31], v[38:39], off
	global_load_b64 v[40:41], v[26:27], off
	s_wait_xcnt 0x1
	v_add_nc_u64_e32 v[30:31], 8, v[30:31]
	s_wait_xcnt 0x0
	v_add_nc_u64_e32 v[26:27], 8, v[26:27]
	s_wait_loadcnt 0x0
	v_div_scale_f64 v[42:43], null, v[38:39], v[38:39], v[40:41]
	v_div_scale_f64 v[48:49], vcc_lo, v[40:41], v[38:39], v[40:41]
	s_delay_alu instid0(VALU_DEP_2) | instskip(SKIP_1) | instid1(TRANS32_DEP_1)
	v_rcp_f64_e32 v[44:45], v[42:43]
	v_nop
	v_fma_f64 v[46:47], -v[42:43], v[44:45], 1.0
	s_delay_alu instid0(VALU_DEP_1) | instskip(NEXT) | instid1(VALU_DEP_1)
	v_fmac_f64_e32 v[44:45], v[44:45], v[46:47]
	v_fma_f64 v[46:47], -v[42:43], v[44:45], 1.0
	s_delay_alu instid0(VALU_DEP_1) | instskip(NEXT) | instid1(VALU_DEP_1)
	v_fmac_f64_e32 v[44:45], v[44:45], v[46:47]
	v_mul_f64_e32 v[46:47], v[48:49], v[44:45]
	s_delay_alu instid0(VALU_DEP_1) | instskip(NEXT) | instid1(VALU_DEP_1)
	v_fma_f64 v[42:43], -v[42:43], v[46:47], v[48:49]
	v_div_fmas_f64 v[42:43], v[42:43], v[44:45], v[46:47]
	v_cmp_eq_u32_e32 vcc_lo, 0, v1
	s_or_b32 s2, vcc_lo, s2
	s_delay_alu instid0(VALU_DEP_2) | instskip(NEXT) | instid1(VALU_DEP_1)
	v_div_fixup_f64 v[38:39], v[42:43], v[38:39], v[40:41]
	v_fmac_f64_e32 v[36:37], v[40:41], v[38:39]
	v_fmac_f64_e32 v[28:29], v[38:39], v[38:39]
	s_delay_alu instid0(VALU_DEP_2)
	v_add_f64_e32 v[34:35], v[34:35], v[36:37]
	s_and_not1_b32 exec_lo, exec_lo, s2
	s_cbranch_execnz .LBB47_172
; %bb.173:
	s_or_b32 exec_lo, exec_lo, s2
	global_load_b64 v[30:31], v[10:11], off
	v_and_b32_e32 v35, 0x7fffffff, v35
.LBB47_174:
	s_wait_xcnt 0x0
	s_or_b32 exec_lo, exec_lo, s1
	s_wait_loadcnt 0x0
	s_delay_alu instid0(VALU_DEP_4)
	v_add_f64_e64 v[26:27], v[30:31], -v[32:33]
	v_add_f64_e32 v[20:21], v[20:21], v[32:33]
	s_mov_b32 s5, exec_lo
	global_store_b64 v[10:11], v[26:27], off
	global_load_b64 v[30:31], v[14:15], off
	s_wait_loadcnt 0x0
	v_div_scale_f64 v[38:39], null, v[26:27], v[26:27], v[30:31]
	s_delay_alu instid0(VALU_DEP_1) | instskip(SKIP_1) | instid1(TRANS32_DEP_1)
	v_rcp_f64_e32 v[40:41], v[38:39]
	v_nop
	v_fma_f64 v[42:43], -v[38:39], v[40:41], 1.0
	s_delay_alu instid0(VALU_DEP_1) | instskip(NEXT) | instid1(VALU_DEP_1)
	v_fmac_f64_e32 v[40:41], v[40:41], v[42:43]
	v_fma_f64 v[42:43], -v[38:39], v[40:41], 1.0
	s_delay_alu instid0(VALU_DEP_1) | instskip(SKIP_1) | instid1(VALU_DEP_1)
	v_fmac_f64_e32 v[40:41], v[40:41], v[42:43]
	v_div_scale_f64 v[42:43], vcc_lo, v[30:31], v[26:27], v[30:31]
	v_mul_f64_e32 v[44:45], v[42:43], v[40:41]
	s_delay_alu instid0(VALU_DEP_1) | instskip(NEXT) | instid1(VALU_DEP_1)
	v_fma_f64 v[38:39], -v[38:39], v[44:45], v[42:43]
	v_div_fmas_f64 v[38:39], v[38:39], v[40:41], v[44:45]
	s_delay_alu instid0(VALU_DEP_1) | instskip(NEXT) | instid1(VALU_DEP_1)
	v_div_fixup_f64 v[38:39], v[38:39], v[26:27], v[30:31]
	v_fma_f64 v[30:31], v[30:31], v[38:39], 0
	v_fma_f64 v[32:33], v[38:39], v[38:39], v[28:29]
	s_delay_alu instid0(VALU_DEP_2) | instskip(SKIP_2) | instid1(VALU_DEP_3)
	v_add_f64_e32 v[40:41], v[36:37], v[30:31]
	v_add_f64_e32 v[34:35], v[34:35], v[30:31]
	;; [unrolled: 1-line block ×3, first 2 shown]
	v_ldexp_f64 v[40:41], -v[40:41], 3
	s_delay_alu instid0(VALU_DEP_1) | instskip(NEXT) | instid1(VALU_DEP_1)
	v_fma_f64 v[32:33], |v[20:21]|, v[32:33], v[40:41]
	v_add_f64_e64 v[32:33], v[32:33], -v[30:31]
	s_delay_alu instid0(VALU_DEP_4) | instskip(NEXT) | instid1(VALU_DEP_2)
	v_add_f64_e32 v[30:31], v[36:37], v[30:31]
	v_add_f64_e32 v[32:33], v[18:19], v[32:33]
	s_delay_alu instid0(VALU_DEP_1) | instskip(NEXT) | instid1(VALU_DEP_1)
	v_add_f64_e32 v[32:33], v[34:35], v[32:33]
	v_mul_f64_e32 v[32:33], s[14:15], v[32:33]
	s_wait_xcnt 0x0
	s_delay_alu instid0(VALU_DEP_1)
	v_cmpx_nle_f64_e64 |v[30:31]|, v[32:33]
	s_cbranch_execz .LBB47_194
; %bb.175:
	v_mul_f64_e32 v[32:33], v[38:39], v[38:39]
	s_mov_b32 s7, 1
	s_mov_b32 s6, 0
	s_branch .LBB47_177
.LBB47_176:                             ;   in Loop: Header=BB47_177 Depth=1
	s_wait_xcnt 0x0
	s_or_b32 exec_lo, exec_lo, s1
	s_wait_loadcnt 0x0
	s_delay_alu instid0(VALU_DEP_4)
	v_add_f64_e64 v[26:27], v[26:27], -v[32:33]
	v_add_f64_e32 v[20:21], v[20:21], v[32:33]
	s_add_co_i32 s2, s7, 1
	s_cmp_gt_u32 s7, 48
	s_cselect_b32 s7, -1, 0
	global_store_b64 v[10:11], v[26:27], off
	global_load_b64 v[36:37], v[14:15], off
	s_wait_loadcnt 0x0
	v_div_scale_f64 v[38:39], null, v[26:27], v[26:27], v[36:37]
	s_delay_alu instid0(VALU_DEP_1) | instskip(SKIP_1) | instid1(TRANS32_DEP_1)
	v_rcp_f64_e32 v[40:41], v[38:39]
	v_nop
	v_fma_f64 v[42:43], -v[38:39], v[40:41], 1.0
	s_delay_alu instid0(VALU_DEP_1) | instskip(NEXT) | instid1(VALU_DEP_1)
	v_fmac_f64_e32 v[40:41], v[40:41], v[42:43]
	v_fma_f64 v[42:43], -v[38:39], v[40:41], 1.0
	s_delay_alu instid0(VALU_DEP_1) | instskip(SKIP_1) | instid1(VALU_DEP_1)
	v_fmac_f64_e32 v[40:41], v[40:41], v[42:43]
	v_div_scale_f64 v[42:43], vcc_lo, v[36:37], v[26:27], v[36:37]
	v_mul_f64_e32 v[44:45], v[42:43], v[40:41]
	s_delay_alu instid0(VALU_DEP_1) | instskip(NEXT) | instid1(VALU_DEP_1)
	v_fma_f64 v[38:39], -v[38:39], v[44:45], v[42:43]
	v_div_fmas_f64 v[38:39], v[38:39], v[40:41], v[44:45]
	s_delay_alu instid0(VALU_DEP_1) | instskip(NEXT) | instid1(VALU_DEP_1)
	v_div_fixup_f64 v[38:39], v[38:39], v[26:27], v[36:37]
	v_fma_f64 v[36:37], v[36:37], v[38:39], 0
	v_fma_f64 v[32:33], v[38:39], v[38:39], v[28:29]
	s_delay_alu instid0(VALU_DEP_2) | instskip(SKIP_2) | instid1(VALU_DEP_3)
	v_add_f64_e32 v[40:41], v[34:35], v[36:37]
	v_add_f64_e32 v[30:31], v[30:31], v[36:37]
	;; [unrolled: 1-line block ×3, first 2 shown]
	v_ldexp_f64 v[40:41], -v[40:41], 3
	s_delay_alu instid0(VALU_DEP_1) | instskip(NEXT) | instid1(VALU_DEP_1)
	v_fma_f64 v[32:33], |v[20:21]|, v[32:33], v[40:41]
	v_add_f64_e64 v[32:33], v[32:33], -v[36:37]
	s_delay_alu instid0(VALU_DEP_1) | instskip(NEXT) | instid1(VALU_DEP_1)
	v_add_f64_e32 v[32:33], v[18:19], v[32:33]
	v_add_f64_e32 v[32:33], v[30:31], v[32:33]
	v_add_f64_e32 v[30:31], v[34:35], v[36:37]
	s_delay_alu instid0(VALU_DEP_2) | instskip(NEXT) | instid1(VALU_DEP_1)
	v_mul_f64_e32 v[32:33], s[14:15], v[32:33]
	v_cmp_le_f64_e64 s1, |v[30:31]|, v[32:33]
	v_mul_f64_e32 v[32:33], v[38:39], v[38:39]
	s_or_b32 s1, s7, s1
	s_mov_b32 s7, s2
	s_and_b32 s1, exec_lo, s1
	s_delay_alu instid0(SALU_CYCLE_1)
	s_or_b32 s6, s1, s6
	s_wait_xcnt 0x0
	s_and_not1_b32 exec_lo, exec_lo, s6
	s_cbranch_execz .LBB47_193
.LBB47_177:                             ; =>This Loop Header: Depth=1
                                        ;     Child Loop BB47_191 Depth 2
	global_load_b64 v[36:37], v[2:3], off offset:-16
	s_wait_loadcnt 0x0
	v_mul_f64_e32 v[40:41], v[26:27], v[36:37]
	v_fma_f64 v[38:39], -v[28:29], v[36:37], v[30:31]
	v_add_f64_e32 v[28:29], v[32:33], v[28:29]
	v_add_f64_e32 v[36:37], v[26:27], v[36:37]
	s_delay_alu instid0(VALU_DEP_4) | instskip(NEXT) | instid1(VALU_DEP_4)
	v_mul_f64_e32 v[34:35], v[30:31], v[40:41]
	v_fma_f64 v[38:39], -v[26:27], v[32:33], v[38:39]
	s_delay_alu instid0(VALU_DEP_4) | instskip(NEXT) | instid1(VALU_DEP_3)
	v_mul_f64_e32 v[32:33], v[28:29], v[40:41]
	v_mul_f64_e32 v[40:41], -4.0, v[34:35]
	s_delay_alu instid0(VALU_DEP_2) | instskip(NEXT) | instid1(VALU_DEP_2)
	v_fma_f64 v[36:37], v[30:31], v[36:37], -v[32:33]
	v_mul_f64_e32 v[32:33], v[40:41], v[38:39]
	s_delay_alu instid0(VALU_DEP_1) | instskip(NEXT) | instid1(VALU_DEP_1)
	v_fmac_f64_e32 v[32:33], v[36:37], v[36:37]
	v_cmp_gt_f64_e64 s1, 0x10000000, |v[32:33]|
	s_delay_alu instid0(VALU_DEP_1) | instskip(NEXT) | instid1(VALU_DEP_1)
	v_cndmask_b32_e64 v1, 0, 0x100, s1
	v_ldexp_f64 v[32:33], |v[32:33]|, v1
	v_cndmask_b32_e64 v1, 0, 0xffffff80, s1
	v_cmp_le_f64_e64 s1, 0, v[36:37]
	s_delay_alu instid0(VALU_DEP_3) | instskip(SKIP_1) | instid1(TRANS32_DEP_1)
	v_rsq_f64_e32 v[40:41], v[32:33]
	v_cmp_class_f64_e64 vcc_lo, v[32:33], 0x260
	v_mul_f64_e32 v[42:43], v[32:33], v[40:41]
	v_mul_f64_e32 v[40:41], 0.5, v[40:41]
	s_delay_alu instid0(VALU_DEP_1) | instskip(NEXT) | instid1(VALU_DEP_1)
	v_fma_f64 v[44:45], -v[40:41], v[42:43], 0.5
	v_fmac_f64_e32 v[42:43], v[42:43], v[44:45]
	v_fmac_f64_e32 v[40:41], v[40:41], v[44:45]
	s_delay_alu instid0(VALU_DEP_2) | instskip(NEXT) | instid1(VALU_DEP_1)
	v_fma_f64 v[44:45], -v[42:43], v[42:43], v[32:33]
	v_fmac_f64_e32 v[42:43], v[44:45], v[40:41]
	s_delay_alu instid0(VALU_DEP_1) | instskip(NEXT) | instid1(VALU_DEP_1)
	v_fma_f64 v[44:45], -v[42:43], v[42:43], v[32:33]
	v_fmac_f64_e32 v[42:43], v[44:45], v[40:41]
	s_delay_alu instid0(VALU_DEP_1) | instskip(NEXT) | instid1(VALU_DEP_1)
	v_ldexp_f64 v[40:41], v[42:43], v1
	v_dual_cndmask_b32 v41, v41, v33 :: v_dual_cndmask_b32 v40, v40, v32
                                        ; implicit-def: $vgpr32_vgpr33
	s_wait_xcnt 0x0
	s_and_saveexec_b32 s2, s1
	s_delay_alu instid0(SALU_CYCLE_1)
	s_xor_b32 s1, exec_lo, s2
	s_cbranch_execz .LBB47_179
; %bb.178:                              ;   in Loop: Header=BB47_177 Depth=1
	v_add_f64_e32 v[32:33], v[36:37], v[40:41]
	v_add_f64_e32 v[34:35], v[38:39], v[38:39]
	s_delay_alu instid0(VALU_DEP_1) | instskip(NEXT) | instid1(VALU_DEP_1)
	v_div_scale_f64 v[36:37], null, v[34:35], v[34:35], v[32:33]
	v_rcp_f64_e32 v[38:39], v[36:37]
	v_nop
	s_delay_alu instid0(TRANS32_DEP_1) | instskip(NEXT) | instid1(VALU_DEP_1)
	v_fma_f64 v[40:41], -v[36:37], v[38:39], 1.0
	v_fmac_f64_e32 v[38:39], v[38:39], v[40:41]
	s_delay_alu instid0(VALU_DEP_1) | instskip(NEXT) | instid1(VALU_DEP_1)
	v_fma_f64 v[40:41], -v[36:37], v[38:39], 1.0
	v_fmac_f64_e32 v[38:39], v[38:39], v[40:41]
	v_div_scale_f64 v[40:41], vcc_lo, v[32:33], v[34:35], v[32:33]
	s_delay_alu instid0(VALU_DEP_1) | instskip(NEXT) | instid1(VALU_DEP_1)
	v_mul_f64_e32 v[42:43], v[40:41], v[38:39]
	v_fma_f64 v[36:37], -v[36:37], v[42:43], v[40:41]
                                        ; implicit-def: $vgpr40_vgpr41
	s_delay_alu instid0(VALU_DEP_1) | instskip(NEXT) | instid1(VALU_DEP_1)
	v_div_fmas_f64 v[36:37], v[36:37], v[38:39], v[42:43]
	v_div_fixup_f64 v[32:33], v[36:37], v[34:35], v[32:33]
                                        ; implicit-def: $vgpr34_vgpr35
                                        ; implicit-def: $vgpr36_vgpr37
.LBB47_179:                             ;   in Loop: Header=BB47_177 Depth=1
	s_and_not1_saveexec_b32 s1, s1
	s_cbranch_execz .LBB47_181
; %bb.180:                              ;   in Loop: Header=BB47_177 Depth=1
	v_add_f64_e32 v[32:33], v[34:35], v[34:35]
	v_add_f64_e64 v[34:35], v[36:37], -v[40:41]
	s_delay_alu instid0(VALU_DEP_1) | instskip(NEXT) | instid1(VALU_DEP_1)
	v_div_scale_f64 v[36:37], null, v[34:35], v[34:35], v[32:33]
	v_rcp_f64_e32 v[38:39], v[36:37]
	v_nop
	s_delay_alu instid0(TRANS32_DEP_1) | instskip(NEXT) | instid1(VALU_DEP_1)
	v_fma_f64 v[40:41], -v[36:37], v[38:39], 1.0
	v_fmac_f64_e32 v[38:39], v[38:39], v[40:41]
	s_delay_alu instid0(VALU_DEP_1) | instskip(NEXT) | instid1(VALU_DEP_1)
	v_fma_f64 v[40:41], -v[36:37], v[38:39], 1.0
	v_fmac_f64_e32 v[38:39], v[38:39], v[40:41]
	v_div_scale_f64 v[40:41], vcc_lo, v[32:33], v[34:35], v[32:33]
	s_delay_alu instid0(VALU_DEP_1) | instskip(NEXT) | instid1(VALU_DEP_1)
	v_mul_f64_e32 v[42:43], v[40:41], v[38:39]
	v_fma_f64 v[36:37], -v[36:37], v[42:43], v[40:41]
	s_delay_alu instid0(VALU_DEP_1) | instskip(NEXT) | instid1(VALU_DEP_1)
	v_div_fmas_f64 v[36:37], v[36:37], v[38:39], v[42:43]
	v_div_fixup_f64 v[32:33], v[36:37], v[34:35], v[32:33]
.LBB47_181:                             ;   in Loop: Header=BB47_177 Depth=1
	s_or_b32 exec_lo, exec_lo, s1
	s_delay_alu instid0(VALU_DEP_1) | instskip(SKIP_1) | instid1(VALU_DEP_1)
	v_mul_f64_e32 v[34:35], v[30:31], v[32:33]
	s_mov_b32 s1, exec_lo
	v_cmpx_lt_f64_e32 0, v[34:35]
	s_cbranch_execz .LBB47_183
; %bb.182:                              ;   in Loop: Header=BB47_177 Depth=1
	v_div_scale_f64 v[32:33], null, v[28:29], v[28:29], -v[30:31]
	s_delay_alu instid0(VALU_DEP_1) | instskip(SKIP_1) | instid1(TRANS32_DEP_1)
	v_rcp_f64_e32 v[34:35], v[32:33]
	v_nop
	v_fma_f64 v[36:37], -v[32:33], v[34:35], 1.0
	s_delay_alu instid0(VALU_DEP_1) | instskip(NEXT) | instid1(VALU_DEP_1)
	v_fmac_f64_e32 v[34:35], v[34:35], v[36:37]
	v_fma_f64 v[36:37], -v[32:33], v[34:35], 1.0
	s_delay_alu instid0(VALU_DEP_1) | instskip(SKIP_1) | instid1(VALU_DEP_1)
	v_fmac_f64_e32 v[34:35], v[34:35], v[36:37]
	v_div_scale_f64 v[36:37], vcc_lo, -v[30:31], v[28:29], -v[30:31]
	v_mul_f64_e32 v[38:39], v[36:37], v[34:35]
	s_delay_alu instid0(VALU_DEP_1) | instskip(NEXT) | instid1(VALU_DEP_1)
	v_fma_f64 v[32:33], -v[32:33], v[38:39], v[36:37]
	v_div_fmas_f64 v[32:33], v[32:33], v[34:35], v[38:39]
	s_delay_alu instid0(VALU_DEP_1)
	v_div_fixup_f64 v[32:33], v[32:33], v[28:29], -v[30:31]
.LBB47_183:                             ;   in Loop: Header=BB47_177 Depth=1
	s_or_b32 exec_lo, exec_lo, s1
	v_cmp_lt_f64_e32 vcc_lo, v[24:25], v[20:21]
	v_cmp_lt_f64_e64 s1, 0, v[30:31]
	v_cmp_lt_f64_e64 s2, v[20:21], v[22:23]
	s_delay_alu instid0(VALU_DEP_4) | instskip(SKIP_3) | instid1(SALU_CYCLE_1)
	v_add_f64_e32 v[28:29], v[20:21], v[32:33]
	v_dual_cndmask_b32 v1, v24, v20 :: v_dual_cndmask_b32 v34, v25, v21
	v_cmp_nge_f64_e32 vcc_lo, 0, v[30:31]
	s_and_b32 s1, s1, s2
	v_dual_cndmask_b32 v23, v23, v21, s1 :: v_dual_cndmask_b32 v22, v22, v20, s1
	s_delay_alu instid0(VALU_DEP_3) | instskip(NEXT) | instid1(VALU_DEP_2)
	v_dual_cndmask_b32 v25, v34, v25 :: v_dual_cndmask_b32 v24, v1, v24
	v_cmp_gt_f64_e32 vcc_lo, v[28:29], v[22:23]
	s_delay_alu instid0(VALU_DEP_2) | instskip(SKIP_1) | instid1(SALU_CYCLE_1)
	v_cmp_lt_f64_e64 s1, v[28:29], v[24:25]
	s_or_b32 s2, vcc_lo, s1
	s_and_saveexec_b32 s1, s2
	s_cbranch_execz .LBB47_189
; %bb.184:                              ;   in Loop: Header=BB47_177 Depth=1
	s_mov_b32 s2, exec_lo
                                        ; implicit-def: $vgpr32_vgpr33
	v_cmpx_ngt_f64_e32 0, v[30:31]
	s_xor_b32 s2, exec_lo, s2
	s_cbranch_execz .LBB47_186
; %bb.185:                              ;   in Loop: Header=BB47_177 Depth=1
	v_add_f64_e64 v[28:29], v[24:25], -v[20:21]
	s_delay_alu instid0(VALU_DEP_1)
	v_mul_f64_e32 v[32:33], 0.5, v[28:29]
.LBB47_186:                             ;   in Loop: Header=BB47_177 Depth=1
	s_and_not1_saveexec_b32 s2, s2
	s_cbranch_execz .LBB47_188
; %bb.187:                              ;   in Loop: Header=BB47_177 Depth=1
	v_add_f64_e64 v[28:29], v[22:23], -v[20:21]
	s_delay_alu instid0(VALU_DEP_1)
	v_mul_f64_e32 v[32:33], 0.5, v[28:29]
.LBB47_188:                             ;   in Loop: Header=BB47_177 Depth=1
	s_or_b32 exec_lo, exec_lo, s2
.LBB47_189:                             ;   in Loop: Header=BB47_177 Depth=1
	s_delay_alu instid0(SALU_CYCLE_1)
	s_or_b32 exec_lo, exec_lo, s1
	v_mov_b64_e32 v[28:29], 0
	v_mov_b64_e32 v[30:31], 0
	;; [unrolled: 1-line block ×3, first 2 shown]
	s_and_saveexec_b32 s1, s0
	s_cbranch_execz .LBB47_176
; %bb.190:                              ;   in Loop: Header=BB47_177 Depth=1
	v_mov_b64_e32 v[28:29], 0
	v_mov_b64_e32 v[26:27], v[12:13]
	;; [unrolled: 1-line block ×5, first 2 shown]
	v_mov_b32_e32 v1, v0
	s_mov_b32 s2, 0
.LBB47_191:                             ;   Parent Loop BB47_177 Depth=1
                                        ; =>  This Inner Loop Header: Depth=2
	global_load_b64 v[38:39], v[36:37], off
	v_add_nc_u32_e32 v1, -1, v1
	s_wait_loadcnt 0x0
	v_add_f64_e64 v[38:39], v[38:39], -v[32:33]
	global_store_b64 v[36:37], v[38:39], off
	global_load_b64 v[40:41], v[26:27], off
	s_wait_xcnt 0x1
	v_add_nc_u64_e32 v[36:37], 8, v[36:37]
	s_wait_xcnt 0x0
	v_add_nc_u64_e32 v[26:27], 8, v[26:27]
	s_wait_loadcnt 0x0
	v_div_scale_f64 v[42:43], null, v[38:39], v[38:39], v[40:41]
	v_div_scale_f64 v[48:49], vcc_lo, v[40:41], v[38:39], v[40:41]
	s_delay_alu instid0(VALU_DEP_2) | instskip(SKIP_1) | instid1(TRANS32_DEP_1)
	v_rcp_f64_e32 v[44:45], v[42:43]
	v_nop
	v_fma_f64 v[46:47], -v[42:43], v[44:45], 1.0
	s_delay_alu instid0(VALU_DEP_1) | instskip(NEXT) | instid1(VALU_DEP_1)
	v_fmac_f64_e32 v[44:45], v[44:45], v[46:47]
	v_fma_f64 v[46:47], -v[42:43], v[44:45], 1.0
	s_delay_alu instid0(VALU_DEP_1) | instskip(NEXT) | instid1(VALU_DEP_1)
	v_fmac_f64_e32 v[44:45], v[44:45], v[46:47]
	v_mul_f64_e32 v[46:47], v[48:49], v[44:45]
	s_delay_alu instid0(VALU_DEP_1) | instskip(NEXT) | instid1(VALU_DEP_1)
	v_fma_f64 v[42:43], -v[42:43], v[46:47], v[48:49]
	v_div_fmas_f64 v[42:43], v[42:43], v[44:45], v[46:47]
	v_cmp_eq_u32_e32 vcc_lo, 0, v1
	s_or_b32 s2, vcc_lo, s2
	s_delay_alu instid0(VALU_DEP_2) | instskip(NEXT) | instid1(VALU_DEP_1)
	v_div_fixup_f64 v[38:39], v[42:43], v[38:39], v[40:41]
	v_fmac_f64_e32 v[34:35], v[40:41], v[38:39]
	v_fmac_f64_e32 v[28:29], v[38:39], v[38:39]
	s_delay_alu instid0(VALU_DEP_2)
	v_add_f64_e32 v[30:31], v[30:31], v[34:35]
	s_and_not1_b32 exec_lo, exec_lo, s2
	s_cbranch_execnz .LBB47_191
; %bb.192:                              ;   in Loop: Header=BB47_177 Depth=1
	s_or_b32 exec_lo, exec_lo, s2
	global_load_b64 v[26:27], v[10:11], off
	v_and_b32_e32 v31, 0x7fffffff, v31
	s_branch .LBB47_176
.LBB47_193:
	s_or_b32 exec_lo, exec_lo, s6
.LBB47_194:
	s_delay_alu instid0(SALU_CYCLE_1)
	s_or_b32 exec_lo, exec_lo, s5
.LBB47_195:
	s_delay_alu instid0(SALU_CYCLE_1)
	s_or_b32 exec_lo, exec_lo, s4
	v_add_f64_e32 v[2:3], v[16:17], v[20:21]
.LBB47_196:
	s_or_b32 exec_lo, exec_lo, s3
	s_wait_loadcnt 0x1
	v_cmp_gt_f64_e32 vcc_lo, 0, v[6:7]
	v_lshl_add_u64 v[0:1], v[4:5], 3, s[12:13]
	global_store_b64 v[0:1], v[2:3], off
	s_wait_xcnt 0x0
	s_and_b32 exec_lo, exec_lo, vcc_lo
	s_cbranch_execz .LBB47_198
; %bb.197:
	v_xor_b32_e32 v3, 0x80000000, v3
	global_store_b64 v[0:1], v[2:3], off
.LBB47_198:
	s_sendmsg sendmsg(MSG_DEALLOC_VGPRS)
	s_endpgm
	.section	.rodata,"a",@progbits
	.p2align	6, 0x0
	.amdhsa_kernel _ZN9rocsolver6v33100L30stedc_mergeValues_Solve_kernelIdEEviiPT_lS3_lS3_S3_PiS2_S2_S2_
		.amdhsa_group_segment_fixed_size 0
		.amdhsa_private_segment_fixed_size 0
		.amdhsa_kernarg_size 344
		.amdhsa_user_sgpr_count 2
		.amdhsa_user_sgpr_dispatch_ptr 0
		.amdhsa_user_sgpr_queue_ptr 0
		.amdhsa_user_sgpr_kernarg_segment_ptr 1
		.amdhsa_user_sgpr_dispatch_id 0
		.amdhsa_user_sgpr_kernarg_preload_length 0
		.amdhsa_user_sgpr_kernarg_preload_offset 0
		.amdhsa_user_sgpr_private_segment_size 0
		.amdhsa_wavefront_size32 1
		.amdhsa_uses_dynamic_stack 0
		.amdhsa_enable_private_segment 0
		.amdhsa_system_sgpr_workgroup_id_x 1
		.amdhsa_system_sgpr_workgroup_id_y 1
		.amdhsa_system_sgpr_workgroup_id_z 0
		.amdhsa_system_sgpr_workgroup_info 0
		.amdhsa_system_vgpr_workitem_id 0
		.amdhsa_next_free_vgpr 74
		.amdhsa_next_free_sgpr 28
		.amdhsa_named_barrier_count 0
		.amdhsa_reserve_vcc 1
		.amdhsa_float_round_mode_32 0
		.amdhsa_float_round_mode_16_64 0
		.amdhsa_float_denorm_mode_32 3
		.amdhsa_float_denorm_mode_16_64 3
		.amdhsa_fp16_overflow 0
		.amdhsa_memory_ordered 1
		.amdhsa_forward_progress 1
		.amdhsa_inst_pref_size 109
		.amdhsa_round_robin_scheduling 0
		.amdhsa_exception_fp_ieee_invalid_op 0
		.amdhsa_exception_fp_denorm_src 0
		.amdhsa_exception_fp_ieee_div_zero 0
		.amdhsa_exception_fp_ieee_overflow 0
		.amdhsa_exception_fp_ieee_underflow 0
		.amdhsa_exception_fp_ieee_inexact 0
		.amdhsa_exception_int_div_zero 0
	.end_amdhsa_kernel
	.section	.text._ZN9rocsolver6v33100L30stedc_mergeValues_Solve_kernelIdEEviiPT_lS3_lS3_S3_PiS2_S2_S2_,"axG",@progbits,_ZN9rocsolver6v33100L30stedc_mergeValues_Solve_kernelIdEEviiPT_lS3_lS3_S3_PiS2_S2_S2_,comdat
.Lfunc_end47:
	.size	_ZN9rocsolver6v33100L30stedc_mergeValues_Solve_kernelIdEEviiPT_lS3_lS3_S3_PiS2_S2_S2_, .Lfunc_end47-_ZN9rocsolver6v33100L30stedc_mergeValues_Solve_kernelIdEEviiPT_lS3_lS3_S3_PiS2_S2_S2_
                                        ; -- End function
	.set _ZN9rocsolver6v33100L30stedc_mergeValues_Solve_kernelIdEEviiPT_lS3_lS3_S3_PiS2_S2_S2_.num_vgpr, 74
	.set _ZN9rocsolver6v33100L30stedc_mergeValues_Solve_kernelIdEEviiPT_lS3_lS3_S3_PiS2_S2_S2_.num_agpr, 0
	.set _ZN9rocsolver6v33100L30stedc_mergeValues_Solve_kernelIdEEviiPT_lS3_lS3_S3_PiS2_S2_S2_.numbered_sgpr, 28
	.set _ZN9rocsolver6v33100L30stedc_mergeValues_Solve_kernelIdEEviiPT_lS3_lS3_S3_PiS2_S2_S2_.num_named_barrier, 0
	.set _ZN9rocsolver6v33100L30stedc_mergeValues_Solve_kernelIdEEviiPT_lS3_lS3_S3_PiS2_S2_S2_.private_seg_size, 0
	.set _ZN9rocsolver6v33100L30stedc_mergeValues_Solve_kernelIdEEviiPT_lS3_lS3_S3_PiS2_S2_S2_.uses_vcc, 1
	.set _ZN9rocsolver6v33100L30stedc_mergeValues_Solve_kernelIdEEviiPT_lS3_lS3_S3_PiS2_S2_S2_.uses_flat_scratch, 0
	.set _ZN9rocsolver6v33100L30stedc_mergeValues_Solve_kernelIdEEviiPT_lS3_lS3_S3_PiS2_S2_S2_.has_dyn_sized_stack, 0
	.set _ZN9rocsolver6v33100L30stedc_mergeValues_Solve_kernelIdEEviiPT_lS3_lS3_S3_PiS2_S2_S2_.has_recursion, 0
	.set _ZN9rocsolver6v33100L30stedc_mergeValues_Solve_kernelIdEEviiPT_lS3_lS3_S3_PiS2_S2_S2_.has_indirect_call, 0
	.section	.AMDGPU.csdata,"",@progbits
; Kernel info:
; codeLenInByte = 13828
; TotalNumSgprs: 30
; NumVgprs: 74
; ScratchSize: 0
; MemoryBound: 1
; FloatMode: 240
; IeeeMode: 1
; LDSByteSize: 0 bytes/workgroup (compile time only)
; SGPRBlocks: 0
; VGPRBlocks: 4
; NumSGPRsForWavesPerEU: 30
; NumVGPRsForWavesPerEU: 74
; NamedBarCnt: 0
; Occupancy: 12
; WaveLimiterHint : 1
; COMPUTE_PGM_RSRC2:SCRATCH_EN: 0
; COMPUTE_PGM_RSRC2:USER_SGPR: 2
; COMPUTE_PGM_RSRC2:TRAP_HANDLER: 0
; COMPUTE_PGM_RSRC2:TGID_X_EN: 1
; COMPUTE_PGM_RSRC2:TGID_Y_EN: 1
; COMPUTE_PGM_RSRC2:TGID_Z_EN: 0
; COMPUTE_PGM_RSRC2:TIDIG_COMP_CNT: 0
	.section	.text._ZN9rocsolver6v33100L32stedc_mergeValues_Rescale_kernelIdEEviiPT_lS3_lS3_S3_PiS2_S2_S2_,"axG",@progbits,_ZN9rocsolver6v33100L32stedc_mergeValues_Rescale_kernelIdEEviiPT_lS3_lS3_S3_PiS2_S2_S2_,comdat
	.globl	_ZN9rocsolver6v33100L32stedc_mergeValues_Rescale_kernelIdEEviiPT_lS3_lS3_S3_PiS2_S2_S2_ ; -- Begin function _ZN9rocsolver6v33100L32stedc_mergeValues_Rescale_kernelIdEEviiPT_lS3_lS3_S3_PiS2_S2_S2_
	.p2align	8
	.type	_ZN9rocsolver6v33100L32stedc_mergeValues_Rescale_kernelIdEEviiPT_lS3_lS3_S3_PiS2_S2_S2_,@function
_ZN9rocsolver6v33100L32stedc_mergeValues_Rescale_kernelIdEEviiPT_lS3_lS3_S3_PiS2_S2_S2_: ; @_ZN9rocsolver6v33100L32stedc_mergeValues_Rescale_kernelIdEEviiPT_lS3_lS3_S3_PiS2_S2_S2_
; %bb.0:
	s_clause 0x1
	s_load_b32 s2, s[0:1], 0x4
	s_load_b64 s[4:5], s[0:1], 0x38
	s_bfe_u32 s6, ttmp6, 0x4000c
	s_bfe_u32 s7, ttmp6, 0x40010
	s_add_co_i32 s6, s6, 1
	s_add_co_i32 s7, s7, 1
	s_and_b32 s3, ttmp6, 15
	s_bfe_u32 s8, ttmp6, 0x40004
	s_mul_i32 s6, ttmp9, s6
	s_mul_i32 s7, ttmp7, s7
	s_getreg_b32 s9, hwreg(HW_REG_IB_STS2, 6, 4)
	s_add_co_i32 s10, s3, s6
	s_add_co_i32 s8, s8, s7
	s_wait_kmcnt 0x0
	s_ashr_i32 s3, s2, 31
	s_cmp_eq_u32 s9, 0
	s_mul_i32 s6, s2, 6
	s_cselect_b32 s14, ttmp7, s8
	s_cselect_b32 s12, ttmp9, s10
	s_mul_i32 s16, s2, s14
	s_ashr_i32 s7, s6, 31
	s_mul_i32 s8, s16, 13
	s_lshl_b64 s[6:7], s[6:7], 2
	s_ashr_i32 s9, s8, 31
	s_ashr_i32 s13, s12, 31
	s_lshl_b64 s[8:9], s[8:9], 2
	s_lshl_b64 s[10:11], s[2:3], 2
	s_add_nc_u64 s[4:5], s[4:5], s[8:9]
	s_delay_alu instid0(SALU_CYCLE_1)
	s_add_nc_u64 s[4:5], s[4:5], s[6:7]
	s_lshl_b64 s[6:7], s[12:13], 2
	s_add_nc_u64 s[8:9], s[4:5], s[10:11]
	s_add_nc_u64 s[4:5], s[4:5], s[6:7]
	;; [unrolled: 1-line block ×3, first 2 shown]
	s_clause 0x1
	s_load_b32 s3, s[4:5], 0x0
	s_load_b32 s17, s[6:7], 0x0
	s_wait_kmcnt 0x0
	s_sub_co_i32 s4, s12, s3
	s_delay_alu instid0(SALU_CYCLE_1)
	s_cmp_ge_i32 s4, s17
	s_cbranch_scc1 .LBB48_17
; %bb.1:
	s_load_b128 s[4:7], s[0:1], 0x28
	s_mov_b32 s9, exec_lo
                                        ; implicit-def: $sgpr8
	v_cmpx_le_i32_e64 s17, v0
	s_xor_b32 s9, exec_lo, s9
; %bb.2:
	s_load_b32 s8, s[0:1], 0x64
; %bb.3:
	s_or_saveexec_b32 s18, s9
	v_mov_b64_e32 v[2:3], 1.0
	s_wait_kmcnt 0x0
	v_mov_b32_e32 v4, s8
	s_xor_b32 exec_lo, exec_lo, s18
	s_cbranch_execz .LBB48_9
; %bb.4:
	s_clause 0x1
	s_load_b128 s[8:11], s[0:1], 0x8
	s_load_b32 s19, s[0:1], 0x64
	v_add_nc_u32_e32 v1, s3, v0
	s_mul_i32 s21, s16, s2
	s_ashr_i32 s15, s14, 31
	s_lshl_b32 s24, s21, 1
	v_mov_b64_e32 v[2:3], 1.0
	v_mad_u32 v4, s2, v1, s12
	s_ashr_i32 s25, s24, 31
	s_wait_xcnt 0x0
	s_mul_i32 s0, s2, s2
	s_mov_b32 s1, 0
	s_lshl_b64 s[24:25], s[24:25], 3
	v_mov_b32_e32 v1, v0
	s_lshl_b64 s[22:23], s[12:13], 3
	s_lshl_b64 s[26:27], s[0:1], 3
	s_add_nc_u64 s[6:7], s[6:7], s[24:25]
	s_sub_co_i32 s20, s3, s12
	s_add_nc_u64 s[6:7], s[6:7], s[26:27]
	v_subrev_nc_u32_e32 v6, s3, v4
	s_wait_kmcnt 0x0
	s_mul_u64 s[10:11], s[10:11], s[14:15]
	s_and_b32 s0, s19, 0xffff
	s_lshl_b64 s[10:11], s[10:11], 3
	s_mul_i32 s14, s2, s0
	s_add_nc_u64 s[8:9], s[8:9], s[10:11]
	s_delay_alu instid0(SALU_CYCLE_1)
	s_add_nc_u64 s[10:11], s[8:9], s[22:23]
	s_branch .LBB48_6
.LBB48_5:                               ;   in Loop: Header=BB48_6 Depth=1
	s_or_b32 exec_lo, exec_lo, s15
	s_wait_loadcnt 0x0
	s_delay_alu instid0(VALU_DEP_1) | instskip(SKIP_1) | instid1(VALU_DEP_1)
	v_dual_mul_f64 v[2:3], v[2:3], v[4:5] :: v_dual_add_nc_u32 v6, s14, v6
	v_add_nc_u32_e32 v1, s0, v1
	v_cmp_le_i32_e32 vcc_lo, s17, v1
	s_or_b32 s1, vcc_lo, s1
	s_delay_alu instid0(SALU_CYCLE_1)
	s_and_not1_b32 exec_lo, exec_lo, s1
	s_cbranch_execz .LBB48_8
.LBB48_6:                               ; =>This Inner Loop Header: Depth=1
	global_load_b64 v[4:5], v6, s[6:7] scale_offset
	v_add_nc_u32_e32 v7, s20, v1
	s_mov_b32 s15, exec_lo
	s_wait_xcnt 0x0
	s_delay_alu instid0(VALU_DEP_1)
	v_cmpx_ne_u32_e32 0, v7
	s_cbranch_execz .LBB48_5
; %bb.7:                                ;   in Loop: Header=BB48_6 Depth=1
	v_add_nc_u32_e32 v7, s3, v1
	s_load_b64 s[22:23], s[10:11], 0x0
	global_load_b64 v[8:9], v7, s[8:9] scale_offset
	s_wait_loadcnt 0x0
	s_wait_kmcnt 0x0
	v_add_f64_e64 v[8:9], s[22:23], -v[8:9]
	s_delay_alu instid0(VALU_DEP_1) | instskip(NEXT) | instid1(VALU_DEP_1)
	v_div_scale_f64 v[10:11], null, v[8:9], v[8:9], v[4:5]
	v_rcp_f64_e32 v[12:13], v[10:11]
	v_nop
	s_delay_alu instid0(TRANS32_DEP_1) | instskip(NEXT) | instid1(VALU_DEP_1)
	v_fma_f64 v[14:15], -v[10:11], v[12:13], 1.0
	v_fmac_f64_e32 v[12:13], v[12:13], v[14:15]
	s_delay_alu instid0(VALU_DEP_1) | instskip(NEXT) | instid1(VALU_DEP_1)
	v_fma_f64 v[14:15], -v[10:11], v[12:13], 1.0
	v_fmac_f64_e32 v[12:13], v[12:13], v[14:15]
	v_div_scale_f64 v[14:15], vcc_lo, v[4:5], v[8:9], v[4:5]
	s_delay_alu instid0(VALU_DEP_1) | instskip(NEXT) | instid1(VALU_DEP_1)
	v_mul_f64_e32 v[16:17], v[14:15], v[12:13]
	v_fma_f64 v[10:11], -v[10:11], v[16:17], v[14:15]
	s_delay_alu instid0(VALU_DEP_1) | instskip(NEXT) | instid1(VALU_DEP_1)
	v_div_fmas_f64 v[10:11], v[10:11], v[12:13], v[16:17]
	v_div_fixup_f64 v[4:5], v[10:11], v[8:9], v[4:5]
	s_branch .LBB48_5
.LBB48_8:
	s_or_b32 exec_lo, exec_lo, s1
	v_mov_b32_e32 v4, s19
.LBB48_9:
	s_or_b32 exec_lo, exec_lo, s18
	v_lshlrev_b32_e32 v1, 3, v0
	s_mov_b32 s0, exec_lo
	ds_store_b64 v1, v[2:3]
	s_wait_dscnt 0x0
	s_barrier_signal -1
	s_barrier_wait -1
	v_cmpx_lt_u16_e32 1, v4
	s_cbranch_execz .LBB48_15
; %bb.10:
	v_lshrrev_b16 v4, 1, v4
	s_mov_b32 s1, 0
	s_delay_alu instid0(VALU_DEP_1)
	v_and_b32_e32 v4, 0xffff, v4
	s_branch .LBB48_12
.LBB48_11:                              ;   in Loop: Header=BB48_12 Depth=1
	s_or_b32 exec_lo, exec_lo, s3
	v_lshrrev_b32_e32 v5, 1, v4
	v_cmp_gt_u32_e32 vcc_lo, 2, v4
	s_wait_dscnt 0x0
	s_barrier_signal -1
	s_barrier_wait -1
	v_mov_b32_e32 v4, v5
	s_or_b32 s1, vcc_lo, s1
	s_delay_alu instid0(SALU_CYCLE_1)
	s_and_not1_b32 exec_lo, exec_lo, s1
	s_cbranch_execz .LBB48_14
.LBB48_12:                              ; =>This Inner Loop Header: Depth=1
	s_mov_b32 s3, exec_lo
	s_delay_alu instid0(VALU_DEP_1)
	v_cmpx_lt_u32_e64 v0, v4
	s_cbranch_execz .LBB48_11
; %bb.13:                               ;   in Loop: Header=BB48_12 Depth=1
	v_lshl_add_u32 v5, v4, 3, v1
	ds_load_b64 v[6:7], v5
	s_wait_dscnt 0x0
	v_mul_f64_e32 v[2:3], v[2:3], v[6:7]
	ds_store_b64 v1, v[2:3]
	s_branch .LBB48_11
.LBB48_14:
	s_or_b32 exec_lo, exec_lo, s1
.LBB48_15:
	s_delay_alu instid0(SALU_CYCLE_1) | instskip(NEXT) | instid1(SALU_CYCLE_1)
	s_or_b32 exec_lo, exec_lo, s0
	s_mov_b32 s0, exec_lo
	v_cmpx_eq_u32_e32 0, v0
	s_cbranch_execz .LBB48_17
; %bb.16:
	v_cmp_gt_f64_e64 s0, 0x10000000, |v[2:3]|
	s_lshl_b32 s2, s2, 3
	s_delay_alu instid0(SALU_CYCLE_1) | instskip(NEXT) | instid1(SALU_CYCLE_1)
	s_ashr_i32 s3, s2, 31
	s_lshl_b64 s[2:3], s[2:3], 3
	v_cndmask_b32_e64 v0, 0, 0x100, s0
	s_delay_alu instid0(VALU_DEP_1) | instskip(NEXT) | instid1(VALU_DEP_1)
	v_ldexp_f64 v[0:1], |v[2:3]|, v0
	v_rsq_f64_e32 v[2:3], v[0:1]
	v_cmp_class_f64_e64 vcc_lo, v[0:1], 0x260
	s_delay_alu instid0(TRANS32_DEP_1) | instskip(SKIP_1) | instid1(VALU_DEP_1)
	v_mul_f64_e32 v[4:5], v[0:1], v[2:3]
	v_mul_f64_e32 v[2:3], 0.5, v[2:3]
	v_fma_f64 v[6:7], -v[2:3], v[4:5], 0.5
	s_delay_alu instid0(VALU_DEP_1) | instskip(SKIP_1) | instid1(VALU_DEP_2)
	v_fmac_f64_e32 v[4:5], v[4:5], v[6:7]
	v_fmac_f64_e32 v[2:3], v[2:3], v[6:7]
	v_fma_f64 v[6:7], -v[4:5], v[4:5], v[0:1]
	s_delay_alu instid0(VALU_DEP_1) | instskip(NEXT) | instid1(VALU_DEP_1)
	v_fmac_f64_e32 v[4:5], v[6:7], v[2:3]
	v_fma_f64 v[6:7], -v[4:5], v[4:5], v[0:1]
	s_delay_alu instid0(VALU_DEP_1) | instskip(SKIP_2) | instid1(SALU_CYCLE_1)
	v_fmac_f64_e32 v[4:5], v[6:7], v[2:3]
	v_cndmask_b32_e64 v2, 0, 0xffffff80, s0
	s_mul_i32 s0, s16, 10
	s_ashr_i32 s1, s0, 31
	s_delay_alu instid0(SALU_CYCLE_1) | instskip(NEXT) | instid1(SALU_CYCLE_1)
	s_lshl_b64 s[0:1], s[0:1], 3
	s_add_nc_u64 s[0:1], s[4:5], s[0:1]
	s_lshl_b64 s[4:5], s[12:13], 3
	s_add_nc_u64 s[0:1], s[0:1], s[2:3]
	s_delay_alu instid0(SALU_CYCLE_1) | instskip(SKIP_1) | instid1(VALU_DEP_2)
	s_add_nc_u64 s[0:1], s[0:1], s[4:5]
	s_load_b64 s[2:3], s[0:1], 0x0
	v_ldexp_f64 v[2:3], v[4:5], v2
	s_delay_alu instid0(VALU_DEP_1) | instskip(SKIP_3) | instid1(VALU_DEP_3)
	v_dual_cndmask_b32 v0, v2, v0 :: v_dual_cndmask_b32 v1, v3, v1
	s_wait_kmcnt 0x0
	v_cmp_lt_f64_e64 vcc_lo, s[2:3], 0
	v_mov_b32_e32 v3, 0
	v_xor_b32_e32 v2, 0x80000000, v1
	s_delay_alu instid0(VALU_DEP_1)
	v_cndmask_b32_e32 v1, v1, v2, vcc_lo
	global_store_b64 v3, v[0:1], s[0:1]
.LBB48_17:
	s_endpgm
	.section	.rodata,"a",@progbits
	.p2align	6, 0x0
	.amdhsa_kernel _ZN9rocsolver6v33100L32stedc_mergeValues_Rescale_kernelIdEEviiPT_lS3_lS3_S3_PiS2_S2_S2_
		.amdhsa_group_segment_fixed_size 4096
		.amdhsa_private_segment_fixed_size 0
		.amdhsa_kernarg_size 344
		.amdhsa_user_sgpr_count 2
		.amdhsa_user_sgpr_dispatch_ptr 0
		.amdhsa_user_sgpr_queue_ptr 0
		.amdhsa_user_sgpr_kernarg_segment_ptr 1
		.amdhsa_user_sgpr_dispatch_id 0
		.amdhsa_user_sgpr_kernarg_preload_length 0
		.amdhsa_user_sgpr_kernarg_preload_offset 0
		.amdhsa_user_sgpr_private_segment_size 0
		.amdhsa_wavefront_size32 1
		.amdhsa_uses_dynamic_stack 0
		.amdhsa_enable_private_segment 0
		.amdhsa_system_sgpr_workgroup_id_x 1
		.amdhsa_system_sgpr_workgroup_id_y 1
		.amdhsa_system_sgpr_workgroup_id_z 0
		.amdhsa_system_sgpr_workgroup_info 0
		.amdhsa_system_vgpr_workitem_id 0
		.amdhsa_next_free_vgpr 18
		.amdhsa_next_free_sgpr 28
		.amdhsa_named_barrier_count 0
		.amdhsa_reserve_vcc 1
		.amdhsa_float_round_mode_32 0
		.amdhsa_float_round_mode_16_64 0
		.amdhsa_float_denorm_mode_32 3
		.amdhsa_float_denorm_mode_16_64 3
		.amdhsa_fp16_overflow 0
		.amdhsa_memory_ordered 1
		.amdhsa_forward_progress 1
		.amdhsa_inst_pref_size 9
		.amdhsa_round_robin_scheduling 0
		.amdhsa_exception_fp_ieee_invalid_op 0
		.amdhsa_exception_fp_denorm_src 0
		.amdhsa_exception_fp_ieee_div_zero 0
		.amdhsa_exception_fp_ieee_overflow 0
		.amdhsa_exception_fp_ieee_underflow 0
		.amdhsa_exception_fp_ieee_inexact 0
		.amdhsa_exception_int_div_zero 0
	.end_amdhsa_kernel
	.section	.text._ZN9rocsolver6v33100L32stedc_mergeValues_Rescale_kernelIdEEviiPT_lS3_lS3_S3_PiS2_S2_S2_,"axG",@progbits,_ZN9rocsolver6v33100L32stedc_mergeValues_Rescale_kernelIdEEviiPT_lS3_lS3_S3_PiS2_S2_S2_,comdat
.Lfunc_end48:
	.size	_ZN9rocsolver6v33100L32stedc_mergeValues_Rescale_kernelIdEEviiPT_lS3_lS3_S3_PiS2_S2_S2_, .Lfunc_end48-_ZN9rocsolver6v33100L32stedc_mergeValues_Rescale_kernelIdEEviiPT_lS3_lS3_S3_PiS2_S2_S2_
                                        ; -- End function
	.set _ZN9rocsolver6v33100L32stedc_mergeValues_Rescale_kernelIdEEviiPT_lS3_lS3_S3_PiS2_S2_S2_.num_vgpr, 18
	.set _ZN9rocsolver6v33100L32stedc_mergeValues_Rescale_kernelIdEEviiPT_lS3_lS3_S3_PiS2_S2_S2_.num_agpr, 0
	.set _ZN9rocsolver6v33100L32stedc_mergeValues_Rescale_kernelIdEEviiPT_lS3_lS3_S3_PiS2_S2_S2_.numbered_sgpr, 28
	.set _ZN9rocsolver6v33100L32stedc_mergeValues_Rescale_kernelIdEEviiPT_lS3_lS3_S3_PiS2_S2_S2_.num_named_barrier, 0
	.set _ZN9rocsolver6v33100L32stedc_mergeValues_Rescale_kernelIdEEviiPT_lS3_lS3_S3_PiS2_S2_S2_.private_seg_size, 0
	.set _ZN9rocsolver6v33100L32stedc_mergeValues_Rescale_kernelIdEEviiPT_lS3_lS3_S3_PiS2_S2_S2_.uses_vcc, 1
	.set _ZN9rocsolver6v33100L32stedc_mergeValues_Rescale_kernelIdEEviiPT_lS3_lS3_S3_PiS2_S2_S2_.uses_flat_scratch, 0
	.set _ZN9rocsolver6v33100L32stedc_mergeValues_Rescale_kernelIdEEviiPT_lS3_lS3_S3_PiS2_S2_S2_.has_dyn_sized_stack, 0
	.set _ZN9rocsolver6v33100L32stedc_mergeValues_Rescale_kernelIdEEviiPT_lS3_lS3_S3_PiS2_S2_S2_.has_recursion, 0
	.set _ZN9rocsolver6v33100L32stedc_mergeValues_Rescale_kernelIdEEviiPT_lS3_lS3_S3_PiS2_S2_S2_.has_indirect_call, 0
	.section	.AMDGPU.csdata,"",@progbits
; Kernel info:
; codeLenInByte = 1072
; TotalNumSgprs: 30
; NumVgprs: 18
; ScratchSize: 0
; MemoryBound: 0
; FloatMode: 240
; IeeeMode: 1
; LDSByteSize: 4096 bytes/workgroup (compile time only)
; SGPRBlocks: 0
; VGPRBlocks: 1
; NumSGPRsForWavesPerEU: 30
; NumVGPRsForWavesPerEU: 18
; NamedBarCnt: 0
; Occupancy: 16
; WaveLimiterHint : 1
; COMPUTE_PGM_RSRC2:SCRATCH_EN: 0
; COMPUTE_PGM_RSRC2:USER_SGPR: 2
; COMPUTE_PGM_RSRC2:TRAP_HANDLER: 0
; COMPUTE_PGM_RSRC2:TGID_X_EN: 1
; COMPUTE_PGM_RSRC2:TGID_Y_EN: 1
; COMPUTE_PGM_RSRC2:TGID_Z_EN: 0
; COMPUTE_PGM_RSRC2:TIDIG_COMP_CNT: 0
	.section	.text._ZN9rocsolver6v33100L25stedc_mergeVectors_kernelILb1EdEEviiPT0_iilS3_S3_Pi,"axG",@progbits,_ZN9rocsolver6v33100L25stedc_mergeVectors_kernelILb1EdEEviiPT0_iilS3_S3_Pi,comdat
	.globl	_ZN9rocsolver6v33100L25stedc_mergeVectors_kernelILb1EdEEviiPT0_iilS3_S3_Pi ; -- Begin function _ZN9rocsolver6v33100L25stedc_mergeVectors_kernelILb1EdEEviiPT0_iilS3_S3_Pi
	.p2align	8
	.type	_ZN9rocsolver6v33100L25stedc_mergeVectors_kernelILb1EdEEviiPT0_iilS3_S3_Pi,@function
_ZN9rocsolver6v33100L25stedc_mergeVectors_kernelILb1EdEEviiPT0_iilS3_S3_Pi: ; @_ZN9rocsolver6v33100L25stedc_mergeVectors_kernelILb1EdEEviiPT0_iilS3_S3_Pi
; %bb.0:
	s_clause 0x2
	s_load_b32 s4, s[0:1], 0x4
	s_load_b32 s6, s[0:1], 0x44
	s_load_b64 s[8:9], s[0:1], 0x30
	s_bfe_u32 s7, ttmp6, 0x4000c
	s_bfe_u32 s10, ttmp6, 0x40010
	s_add_co_i32 s7, s7, 1
	s_add_co_i32 s10, s10, 1
	s_and_b32 s5, ttmp6, 15
	s_bfe_u32 s11, ttmp6, 0x40004
	s_mul_i32 s7, ttmp9, s7
	s_mul_i32 s10, ttmp7, s10
	s_getreg_b32 s12, hwreg(HW_REG_IB_STS2, 6, 4)
	s_add_co_i32 s7, s5, s7
	s_add_co_i32 s11, s11, s10
	s_wait_xcnt 0x0
	s_load_b128 s[0:3], s[0:1], 0x20
	s_wait_kmcnt 0x0
	s_ashr_i32 s5, s4, 31
	s_and_b32 s14, s6, 0xffff
	s_cmp_eq_u32 s12, 0
	s_mul_i32 s10, s4, 5
	s_cselect_b32 s6, ttmp7, s11
	s_delay_alu instid0(SALU_CYCLE_1)
	s_mul_i32 s12, s4, s6
	s_cselect_b32 s6, ttmp9, s7
	s_mul_i32 s16, s12, 13
	s_ashr_i32 s11, s10, 31
	s_ashr_i32 s17, s16, 31
	s_lshl_b64 s[10:11], s[10:11], 2
	s_lshl_b64 s[16:17], s[16:17], 2
	s_ashr_i32 s7, s6, 31
	s_add_nc_u64 s[8:9], s[8:9], s[16:17]
	s_lshl_b64 s[16:17], s[4:5], 2
	s_add_nc_u64 s[8:9], s[8:9], s[10:11]
	s_lshl_b64 s[18:19], s[6:7], 2
	s_add_nc_u64 s[10:11], s[8:9], s[16:17]
	s_add_nc_u64 s[8:9], s[8:9], s[18:19]
	;; [unrolled: 1-line block ×5, first 2 shown]
	s_clause 0x1
	s_load_b32 s5, s[10:11], 0x0
	s_load_b32 s7, s[16:17], 0x0
	s_wait_kmcnt 0x0
	s_sub_co_i32 s13, s6, s5
	s_load_b32 s16, s[8:9], 0x0
	s_wait_xcnt 0x0
	s_mul_i32 s8, s12, s4
	s_mov_b32 s9, 0
	s_lshl_b32 s10, s8, 1
	s_mul_i32 s8, s4, s4
	s_ashr_i32 s11, s10, 31
	s_cmp_ge_i32 s13, s7
	s_cselect_b32 s15, -1, 0
	s_barrier_signal -1
	s_and_b32 vcc_lo, exec_lo, s15
	s_barrier_wait -1
	s_cbranch_vccnz .LBB49_10
; %bb.1:
	v_mov_b64_e32 v[2:3], 0
	s_mov_b32 s17, exec_lo
	v_cmpx_gt_i32_e64 s7, v0
	s_cbranch_execz .LBB49_5
; %bb.2:
	v_mad_u32 v2, s4, s6, v0
	s_mul_i32 s18, s12, 10
	s_lshl_b32 s20, s4, 3
	s_ashr_i32 s19, s18, 31
	s_ashr_i32 s21, s20, 31
	s_lshl_b64 s[22:23], s[8:9], 3
	s_lshl_b64 s[18:19], s[18:19], 3
	;; [unrolled: 1-line block ×3, first 2 shown]
	s_add_nc_u64 s[22:23], s[2:3], s[22:23]
	s_add_nc_u64 s[18:19], s[18:19], s[20:21]
	s_mov_b32 s13, 0
	v_dual_ashrrev_i32 v3, 31, v2 :: v_dual_add_nc_u32 v8, s5, v0
	s_add_nc_u64 s[0:1], s[0:1], s[18:19]
	s_lshl_b32 s12, s14, 3
	s_mov_b32 s18, s13
	s_delay_alu instid0(VALU_DEP_1) | instskip(SKIP_1) | instid1(VALU_DEP_1)
	v_lshlrev_b64_e32 v[2:3], 3, v[2:3]
	v_dual_ashrrev_i32 v9, 31, v8 :: v_dual_mov_b32 v1, v0
	v_lshl_add_u64 v[8:9], v[8:9], 3, s[0:1]
	s_delay_alu instid0(VALU_DEP_3) | instskip(SKIP_1) | instid1(VALU_DEP_1)
	v_lshl_add_u64 v[2:3], s[10:11], 3, v[2:3]
	s_mov_b64 s[0:1], 0
	v_add_nc_u64_e32 v[4:5], s[22:23], v[2:3]
	v_add_nc_u64_e32 v[6:7], s[2:3], v[2:3]
	v_mov_b64_e32 v[2:3], 0
.LBB49_3:                               ; =>This Inner Loop Header: Depth=1
	v_add_nc_u64_e32 v[10:11], s[0:1], v[8:9]
	s_delay_alu instid0(VALU_DEP_4)
	v_add_nc_u64_e32 v[12:13], s[0:1], v[4:5]
	global_load_b64 v[14:15], v[10:11], off
	global_load_b64 v[16:17], v[12:13], off
	v_add_nc_u32_e32 v1, s14, v1
	s_wait_loadcnt 0x0
	s_wait_xcnt 0x1
	v_div_scale_f64 v[10:11], null, v[16:17], v[16:17], v[14:15]
	v_div_scale_f64 v[20:21], vcc_lo, v[14:15], v[16:17], v[14:15]
	s_wait_xcnt 0x0
	s_delay_alu instid0(VALU_DEP_2) | instskip(SKIP_1) | instid1(TRANS32_DEP_1)
	v_rcp_f64_e32 v[12:13], v[10:11]
	v_nop
	v_fma_f64 v[18:19], -v[10:11], v[12:13], 1.0
	s_delay_alu instid0(VALU_DEP_1) | instskip(NEXT) | instid1(VALU_DEP_1)
	v_fmac_f64_e32 v[12:13], v[12:13], v[18:19]
	v_fma_f64 v[18:19], -v[10:11], v[12:13], 1.0
	s_delay_alu instid0(VALU_DEP_1) | instskip(NEXT) | instid1(VALU_DEP_1)
	v_fmac_f64_e32 v[12:13], v[12:13], v[18:19]
	v_mul_f64_e32 v[18:19], v[20:21], v[12:13]
	s_delay_alu instid0(VALU_DEP_1) | instskip(NEXT) | instid1(VALU_DEP_1)
	v_fma_f64 v[10:11], -v[10:11], v[18:19], v[20:21]
	v_div_fmas_f64 v[10:11], v[10:11], v[12:13], v[18:19]
	v_add_nc_u64_e32 v[12:13], s[0:1], v[6:7]
	v_cmp_le_i32_e32 vcc_lo, s7, v1
	s_add_nc_u64 s[0:1], s[0:1], s[12:13]
	s_or_b32 s18, vcc_lo, s18
	s_delay_alu instid0(VALU_DEP_3) | instskip(NEXT) | instid1(VALU_DEP_1)
	v_div_fixup_f64 v[10:11], v[10:11], v[16:17], v[14:15]
	v_fmac_f64_e32 v[2:3], v[10:11], v[10:11]
	global_store_b64 v[12:13], v[10:11], off
	s_wait_xcnt 0x0
	s_and_not1_b32 exec_lo, exec_lo, s18
	s_cbranch_execnz .LBB49_3
; %bb.4:
	s_or_b32 exec_lo, exec_lo, s18
.LBB49_5:
	s_delay_alu instid0(SALU_CYCLE_1)
	s_or_b32 exec_lo, exec_lo, s17
	v_lshlrev_b32_e32 v1, 3, v0
	s_cmp_lt_u32 s14, 2
	ds_store_b64 v1, v[2:3]
	s_cbranch_scc1 .LBB49_11
; %bb.6:
	s_mov_b32 s0, s14
	s_branch .LBB49_8
.LBB49_7:                               ;   in Loop: Header=BB49_8 Depth=1
	s_or_b32 exec_lo, exec_lo, s12
	s_cmp_lt_u32 s0, 4
	s_mov_b32 s0, s1
	s_cbranch_scc1 .LBB49_11
.LBB49_8:                               ; =>This Inner Loop Header: Depth=1
	s_lshr_b32 s1, s0, 1
	s_mov_b32 s12, exec_lo
	s_wait_storecnt_dscnt 0x0
	s_barrier_signal -1
	s_barrier_wait -1
	v_cmpx_gt_u32_e64 s1, v0
	s_cbranch_execz .LBB49_7
; %bb.9:                                ;   in Loop: Header=BB49_8 Depth=1
	v_lshl_add_u32 v4, s1, 3, v1
	ds_load_b64 v[4:5], v4
	s_wait_dscnt 0x0
	v_add_f64_e32 v[2:3], v[2:3], v[4:5]
	ds_store_b64 v1, v[2:3]
	s_branch .LBB49_7
.LBB49_10:
                                        ; implicit-def: $vgpr2_vgpr3
	s_wait_kmcnt 0x0
	s_add_co_i32 s16, s16, s5
	s_mov_b32 s0, exec_lo
	v_cmpx_gt_i32_e64 s16, v0
	s_cbranch_execnz .LBB49_12
	s_branch .LBB49_18
.LBB49_11:
	v_mov_b32_e32 v1, 0
	s_wait_storecnt_dscnt 0x0
	s_barrier_signal -1
	s_barrier_wait -1
	ds_load_b64 v[2:3], v1
	s_wait_dscnt 0x0
	v_cmp_gt_f64_e32 vcc_lo, 0x10000000, v[2:3]
	s_and_b32 s0, vcc_lo, exec_lo
	s_cselect_b32 s0, 0x100, 0
	s_delay_alu instid0(SALU_CYCLE_1) | instskip(SKIP_1) | instid1(VALU_DEP_1)
	v_ldexp_f64 v[2:3], v[2:3], s0
	s_cselect_b32 s0, 0xffffff80, 0
	v_rsq_f64_e32 v[4:5], v[2:3]
	v_cmp_class_f64_e64 vcc_lo, v[2:3], 0x260
	s_delay_alu instid0(TRANS32_DEP_1) | instskip(SKIP_1) | instid1(VALU_DEP_1)
	v_mul_f64_e32 v[6:7], v[2:3], v[4:5]
	v_mul_f64_e32 v[4:5], 0.5, v[4:5]
	v_fma_f64 v[8:9], -v[4:5], v[6:7], 0.5
	s_delay_alu instid0(VALU_DEP_1) | instskip(SKIP_1) | instid1(VALU_DEP_2)
	v_fmac_f64_e32 v[6:7], v[6:7], v[8:9]
	v_fmac_f64_e32 v[4:5], v[4:5], v[8:9]
	v_fma_f64 v[8:9], -v[6:7], v[6:7], v[2:3]
	s_delay_alu instid0(VALU_DEP_1) | instskip(NEXT) | instid1(VALU_DEP_1)
	v_fmac_f64_e32 v[6:7], v[8:9], v[4:5]
	v_fma_f64 v[8:9], -v[6:7], v[6:7], v[2:3]
	s_delay_alu instid0(VALU_DEP_1) | instskip(NEXT) | instid1(VALU_DEP_1)
	v_fmac_f64_e32 v[6:7], v[8:9], v[4:5]
	v_ldexp_f64 v[4:5], v[6:7], s0
	s_delay_alu instid0(VALU_DEP_1)
	v_dual_cndmask_b32 v3, v5, v3 :: v_dual_cndmask_b32 v2, v4, v2
	s_wait_kmcnt 0x0
	s_add_co_i32 s16, s16, s5
	s_mov_b32 s0, exec_lo
	v_cmpx_gt_i32_e64 s16, v0
	s_cbranch_execz .LBB49_18
.LBB49_12:
	s_lshl_b64 s[0:1], s[10:11], 3
	s_lshl_b64 s[8:9], s[8:9], 3
	s_add_nc_u64 s[0:1], s[2:3], s[0:1]
	s_mul_i32 s4, s4, s6
	s_add_nc_u64 s[2:3], s[0:1], s[8:9]
	s_mov_b32 s6, 0
	s_sub_co_i32 s8, 0, s5
	s_sub_co_i32 s9, s4, s5
	s_xor_b32 s10, s15, -1
	s_branch .LBB49_15
.LBB49_13:                              ;   in Loop: Header=BB49_15 Depth=1
	s_wait_xcnt 0x0
	s_or_b32 exec_lo, exec_lo, s12
.LBB49_14:                              ;   in Loop: Header=BB49_15 Depth=1
	s_delay_alu instid0(SALU_CYCLE_1)
	s_or_b32 exec_lo, exec_lo, s11
	v_dual_add_nc_u32 v1, s4, v0 :: v_dual_add_nc_u32 v0, s14, v0
	global_store_b64 v1, v[4:5], s[2:3] scale_offset
	v_cmp_le_i32_e32 vcc_lo, s16, v0
	s_or_b32 s6, vcc_lo, s6
	s_wait_xcnt 0x0
	s_and_not1_b32 exec_lo, exec_lo, s6
	s_cbranch_execz .LBB49_18
.LBB49_15:                              ; =>This Inner Loop Header: Depth=1
	v_cmp_le_i32_e32 vcc_lo, s5, v0
	v_mov_b64_e32 v[4:5], 0
	s_and_b32 s12, s10, vcc_lo
	s_delay_alu instid0(SALU_CYCLE_1)
	s_and_saveexec_b32 s11, s12
	s_cbranch_execz .LBB49_14
; %bb.16:                               ;   in Loop: Header=BB49_15 Depth=1
	v_mov_b64_e32 v[4:5], 0
	v_add_nc_u32_e32 v1, s8, v0
	s_mov_b32 s12, exec_lo
	s_delay_alu instid0(VALU_DEP_1)
	v_cmpx_gt_i32_e64 s7, v1
	s_cbranch_execz .LBB49_13
; %bb.17:                               ;   in Loop: Header=BB49_15 Depth=1
	v_add_nc_u32_e32 v1, s9, v0
	global_load_b64 v[4:5], v1, s[0:1] scale_offset
	s_wait_loadcnt 0x0
	v_div_scale_f64 v[6:7], null, v[2:3], v[2:3], v[4:5]
	s_delay_alu instid0(VALU_DEP_1) | instskip(SKIP_1) | instid1(TRANS32_DEP_1)
	v_rcp_f64_e32 v[8:9], v[6:7]
	v_nop
	v_fma_f64 v[10:11], -v[6:7], v[8:9], 1.0
	s_delay_alu instid0(VALU_DEP_1) | instskip(NEXT) | instid1(VALU_DEP_1)
	v_fmac_f64_e32 v[8:9], v[8:9], v[10:11]
	v_fma_f64 v[10:11], -v[6:7], v[8:9], 1.0
	s_delay_alu instid0(VALU_DEP_1) | instskip(SKIP_1) | instid1(VALU_DEP_1)
	v_fmac_f64_e32 v[8:9], v[8:9], v[10:11]
	v_div_scale_f64 v[10:11], vcc_lo, v[4:5], v[2:3], v[4:5]
	v_mul_f64_e32 v[12:13], v[10:11], v[8:9]
	s_delay_alu instid0(VALU_DEP_1) | instskip(NEXT) | instid1(VALU_DEP_1)
	v_fma_f64 v[6:7], -v[6:7], v[12:13], v[10:11]
	v_div_fmas_f64 v[6:7], v[6:7], v[8:9], v[12:13]
	s_delay_alu instid0(VALU_DEP_1)
	v_div_fixup_f64 v[4:5], v[6:7], v[2:3], v[4:5]
	s_branch .LBB49_13
.LBB49_18:
	s_endpgm
	.section	.rodata,"a",@progbits
	.p2align	6, 0x0
	.amdhsa_kernel _ZN9rocsolver6v33100L25stedc_mergeVectors_kernelILb1EdEEviiPT0_iilS3_S3_Pi
		.amdhsa_group_segment_fixed_size 4096
		.amdhsa_private_segment_fixed_size 0
		.amdhsa_kernarg_size 312
		.amdhsa_user_sgpr_count 2
		.amdhsa_user_sgpr_dispatch_ptr 0
		.amdhsa_user_sgpr_queue_ptr 0
		.amdhsa_user_sgpr_kernarg_segment_ptr 1
		.amdhsa_user_sgpr_dispatch_id 0
		.amdhsa_user_sgpr_kernarg_preload_length 0
		.amdhsa_user_sgpr_kernarg_preload_offset 0
		.amdhsa_user_sgpr_private_segment_size 0
		.amdhsa_wavefront_size32 1
		.amdhsa_uses_dynamic_stack 0
		.amdhsa_enable_private_segment 0
		.amdhsa_system_sgpr_workgroup_id_x 1
		.amdhsa_system_sgpr_workgroup_id_y 1
		.amdhsa_system_sgpr_workgroup_id_z 0
		.amdhsa_system_sgpr_workgroup_info 0
		.amdhsa_system_vgpr_workitem_id 0
		.amdhsa_next_free_vgpr 22
		.amdhsa_next_free_sgpr 24
		.amdhsa_named_barrier_count 0
		.amdhsa_reserve_vcc 1
		.amdhsa_float_round_mode_32 0
		.amdhsa_float_round_mode_16_64 0
		.amdhsa_float_denorm_mode_32 3
		.amdhsa_float_denorm_mode_16_64 3
		.amdhsa_fp16_overflow 0
		.amdhsa_memory_ordered 1
		.amdhsa_forward_progress 1
		.amdhsa_inst_pref_size 10
		.amdhsa_round_robin_scheduling 0
		.amdhsa_exception_fp_ieee_invalid_op 0
		.amdhsa_exception_fp_denorm_src 0
		.amdhsa_exception_fp_ieee_div_zero 0
		.amdhsa_exception_fp_ieee_overflow 0
		.amdhsa_exception_fp_ieee_underflow 0
		.amdhsa_exception_fp_ieee_inexact 0
		.amdhsa_exception_int_div_zero 0
	.end_amdhsa_kernel
	.section	.text._ZN9rocsolver6v33100L25stedc_mergeVectors_kernelILb1EdEEviiPT0_iilS3_S3_Pi,"axG",@progbits,_ZN9rocsolver6v33100L25stedc_mergeVectors_kernelILb1EdEEviiPT0_iilS3_S3_Pi,comdat
.Lfunc_end49:
	.size	_ZN9rocsolver6v33100L25stedc_mergeVectors_kernelILb1EdEEviiPT0_iilS3_S3_Pi, .Lfunc_end49-_ZN9rocsolver6v33100L25stedc_mergeVectors_kernelILb1EdEEviiPT0_iilS3_S3_Pi
                                        ; -- End function
	.set _ZN9rocsolver6v33100L25stedc_mergeVectors_kernelILb1EdEEviiPT0_iilS3_S3_Pi.num_vgpr, 22
	.set _ZN9rocsolver6v33100L25stedc_mergeVectors_kernelILb1EdEEviiPT0_iilS3_S3_Pi.num_agpr, 0
	.set _ZN9rocsolver6v33100L25stedc_mergeVectors_kernelILb1EdEEviiPT0_iilS3_S3_Pi.numbered_sgpr, 24
	.set _ZN9rocsolver6v33100L25stedc_mergeVectors_kernelILb1EdEEviiPT0_iilS3_S3_Pi.num_named_barrier, 0
	.set _ZN9rocsolver6v33100L25stedc_mergeVectors_kernelILb1EdEEviiPT0_iilS3_S3_Pi.private_seg_size, 0
	.set _ZN9rocsolver6v33100L25stedc_mergeVectors_kernelILb1EdEEviiPT0_iilS3_S3_Pi.uses_vcc, 1
	.set _ZN9rocsolver6v33100L25stedc_mergeVectors_kernelILb1EdEEviiPT0_iilS3_S3_Pi.uses_flat_scratch, 0
	.set _ZN9rocsolver6v33100L25stedc_mergeVectors_kernelILb1EdEEviiPT0_iilS3_S3_Pi.has_dyn_sized_stack, 0
	.set _ZN9rocsolver6v33100L25stedc_mergeVectors_kernelILb1EdEEviiPT0_iilS3_S3_Pi.has_recursion, 0
	.set _ZN9rocsolver6v33100L25stedc_mergeVectors_kernelILb1EdEEviiPT0_iilS3_S3_Pi.has_indirect_call, 0
	.section	.AMDGPU.csdata,"",@progbits
; Kernel info:
; codeLenInByte = 1240
; TotalNumSgprs: 26
; NumVgprs: 22
; ScratchSize: 0
; MemoryBound: 0
; FloatMode: 240
; IeeeMode: 1
; LDSByteSize: 4096 bytes/workgroup (compile time only)
; SGPRBlocks: 0
; VGPRBlocks: 1
; NumSGPRsForWavesPerEU: 26
; NumVGPRsForWavesPerEU: 22
; NamedBarCnt: 0
; Occupancy: 16
; WaveLimiterHint : 1
; COMPUTE_PGM_RSRC2:SCRATCH_EN: 0
; COMPUTE_PGM_RSRC2:USER_SGPR: 2
; COMPUTE_PGM_RSRC2:TRAP_HANDLER: 0
; COMPUTE_PGM_RSRC2:TGID_X_EN: 1
; COMPUTE_PGM_RSRC2:TGID_Y_EN: 1
; COMPUTE_PGM_RSRC2:TGID_Z_EN: 0
; COMPUTE_PGM_RSRC2:TIDIG_COMP_CNT: 0
	.section	.text._ZN9rocsolver6v33100L24stedc_mergeUpdate_kernelIdEEviiPT_lS3_iilS3_S3_Pi,"axG",@progbits,_ZN9rocsolver6v33100L24stedc_mergeUpdate_kernelIdEEviiPT_lS3_iilS3_S3_Pi,comdat
	.globl	_ZN9rocsolver6v33100L24stedc_mergeUpdate_kernelIdEEviiPT_lS3_iilS3_S3_Pi ; -- Begin function _ZN9rocsolver6v33100L24stedc_mergeUpdate_kernelIdEEviiPT_lS3_iilS3_S3_Pi
	.p2align	8
	.type	_ZN9rocsolver6v33100L24stedc_mergeUpdate_kernelIdEEviiPT_lS3_iilS3_S3_Pi,@function
_ZN9rocsolver6v33100L24stedc_mergeUpdate_kernelIdEEviiPT_lS3_iilS3_S3_Pi: ; @_ZN9rocsolver6v33100L24stedc_mergeUpdate_kernelIdEEviiPT_lS3_iilS3_S3_Pi
; %bb.0:
	s_clause 0x1
	s_load_b32 s2, s[0:1], 0x4
	s_load_b256 s[4:11], s[0:1], 0x28
	s_bfe_u32 s12, ttmp6, 0x4000c
	s_bfe_u32 s13, ttmp6, 0x40010
	s_add_co_i32 s12, s12, 1
	s_add_co_i32 s13, s13, 1
	s_and_b32 s3, ttmp6, 15
	s_bfe_u32 s14, ttmp6, 0x40004
	s_mul_i32 s12, ttmp9, s12
	s_mul_i32 s13, ttmp7, s13
	s_getreg_b32 s15, hwreg(HW_REG_IB_STS2, 6, 4)
	s_add_co_i32 s3, s3, s12
	s_add_co_i32 s14, s14, s13
	s_cmp_eq_u32 s15, 0
	s_cselect_b32 s18, ttmp7, s14
	s_cselect_b32 s16, ttmp9, s3
	s_delay_alu instid0(SALU_CYCLE_1)
	s_ashr_i32 s17, s16, 31
	s_wait_kmcnt 0x0
	s_mul_i32 s22, s2, s18
	s_mul_i32 s12, s2, 7
	;; [unrolled: 1-line block ×3, first 2 shown]
	s_ashr_i32 s3, s2, 31
	s_ashr_i32 s15, s14, 31
	;; [unrolled: 1-line block ×3, first 2 shown]
	s_lshl_b64 s[14:15], s[14:15], 2
	s_lshl_b64 s[20:21], s[2:3], 3
	;; [unrolled: 1-line block ×3, first 2 shown]
	s_add_nc_u64 s[10:11], s[10:11], s[14:15]
	s_sub_nc_u64 s[14:15], 0, s[20:21]
	s_add_nc_u64 s[24:25], s[10:11], s[12:13]
	s_lshl_b64 s[12:13], s[2:3], 2
	s_add_nc_u64 s[10:11], s[24:25], s[14:15]
	s_delay_alu instid0(SALU_CYCLE_1) | instskip(SKIP_1) | instid1(SALU_CYCLE_1)
	s_add_nc_u64 s[14:15], s[10:11], s[12:13]
	s_lshl_b64 s[12:13], s[16:17], 2
	s_add_nc_u64 s[14:15], s[14:15], s[12:13]
	s_add_nc_u64 s[24:25], s[24:25], s[12:13]
	s_clause 0x1
	s_load_b32 s3, s[14:15], 0x0
	s_load_b32 s19, s[24:25], 0x0
	s_wait_kmcnt 0x0
	s_sub_co_i32 s14, s16, s3
	s_delay_alu instid0(SALU_CYCLE_1)
	s_cmp_ge_i32 s14, s19
	s_cbranch_scc1 .LBB50_6
; %bb.1:
	s_add_nc_u64 s[24:25], s[10:11], s[12:13]
	s_clause 0x1
	s_load_b128 s[12:15], s[0:1], 0x8
	s_load_b64 s[10:11], s[0:1], 0x18
	s_load_b32 s23, s[24:25], 0x0
	s_ashr_i32 s19, s18, 31
	s_wait_xcnt 0x0
	s_mov_b32 s24, exec_lo
	v_cmpx_eq_u32_e32 0, v0
	s_cbranch_execz .LBB50_3
; %bb.2:
	s_mul_i32 s26, s22, 10
	s_wait_kmcnt 0x0
	s_mul_u64 s[14:15], s[14:15], s[18:19]
	s_ashr_i32 s27, s26, 31
	s_lshl_b64 s[14:15], s[14:15], 3
	s_lshl_b64 s[26:27], s[26:27], 3
	v_mov_b32_e32 v1, 0
	s_add_nc_u64 s[6:7], s[6:7], s[26:27]
	s_lshl_b64 s[26:27], s[16:17], 3
	s_add_nc_u64 s[6:7], s[6:7], s[20:21]
	s_delay_alu instid0(SALU_CYCLE_1) | instskip(SKIP_4) | instid1(SALU_CYCLE_1)
	s_add_nc_u64 s[6:7], s[6:7], s[26:27]
	s_load_b64 s[6:7], s[6:7], 0x0
	s_wait_kmcnt 0x0
	v_mov_b64_e32 v[2:3], s[6:7]
	s_add_nc_u64 s[6:7], s[12:13], s[14:15]
	s_add_nc_u64 s[6:7], s[6:7], s[26:27]
	global_store_b64 v1, v[2:3], s[6:7]
.LBB50_3:
	s_wait_xcnt 0x0
	s_or_b32 exec_lo, exec_lo, s24
	v_add_nc_u32_e32 v0, s3, v0
	s_wait_kmcnt 0x0
	s_add_co_i32 s6, s23, s3
	s_mov_b32 s3, exec_lo
	s_delay_alu instid0(VALU_DEP_1)
	v_cmpx_gt_i32_e64 s6, v0
	s_cbranch_execz .LBB50_6
; %bb.4:
	s_clause 0x1
	s_load_b64 s[12:13], s[0:1], 0x20
	s_load_b32 s7, s[0:1], 0x54
	s_mul_i32 s22, s22, s2
	s_wait_xcnt 0x0
	s_mul_u64 s[0:1], s[4:5], s[18:19]
	s_lshl_b32 s14, s22, 1
	s_mul_i32 s4, s2, s16
	s_ashr_i32 s15, s14, 31
	s_lshl_b64 s[0:1], s[0:1], 3
	s_lshl_b64 s[2:3], s[14:15], 3
	s_add_nc_u64 s[10:11], s[10:11], s[0:1]
	s_add_nc_u64 s[0:1], s[8:9], s[2:3]
	s_mov_b32 s8, 0
	s_wait_kmcnt 0x0
	s_ashr_i32 s3, s12, 31
	s_mov_b32 s2, s12
	s_mul_i32 s5, s13, s16
	s_lshl_b64 s[2:3], s[2:3], 3
	s_and_b32 s7, s7, 0xffff
	s_add_nc_u64 s[2:3], s[10:11], s[2:3]
.LBB50_5:                               ; =>This Inner Loop Header: Depth=1
	v_add_nc_u32_e32 v1, s4, v0
	global_load_b64 v[2:3], v1, s[0:1] scale_offset
	s_wait_xcnt 0x0
	v_dual_add_nc_u32 v1, s5, v0 :: v_dual_add_nc_u32 v0, s7, v0
	s_delay_alu instid0(VALU_DEP_1)
	v_cmp_le_i32_e32 vcc_lo, s6, v0
	s_or_b32 s8, vcc_lo, s8
	s_wait_loadcnt 0x0
	global_store_b64 v1, v[2:3], s[2:3] scale_offset
	s_wait_xcnt 0x0
	s_and_not1_b32 exec_lo, exec_lo, s8
	s_cbranch_execnz .LBB50_5
.LBB50_6:
	s_endpgm
	.section	.rodata,"a",@progbits
	.p2align	6, 0x0
	.amdhsa_kernel _ZN9rocsolver6v33100L24stedc_mergeUpdate_kernelIdEEviiPT_lS3_iilS3_S3_Pi
		.amdhsa_group_segment_fixed_size 0
		.amdhsa_private_segment_fixed_size 0
		.amdhsa_kernarg_size 328
		.amdhsa_user_sgpr_count 2
		.amdhsa_user_sgpr_dispatch_ptr 0
		.amdhsa_user_sgpr_queue_ptr 0
		.amdhsa_user_sgpr_kernarg_segment_ptr 1
		.amdhsa_user_sgpr_dispatch_id 0
		.amdhsa_user_sgpr_kernarg_preload_length 0
		.amdhsa_user_sgpr_kernarg_preload_offset 0
		.amdhsa_user_sgpr_private_segment_size 0
		.amdhsa_wavefront_size32 1
		.amdhsa_uses_dynamic_stack 0
		.amdhsa_enable_private_segment 0
		.amdhsa_system_sgpr_workgroup_id_x 1
		.amdhsa_system_sgpr_workgroup_id_y 1
		.amdhsa_system_sgpr_workgroup_id_z 0
		.amdhsa_system_sgpr_workgroup_info 0
		.amdhsa_system_vgpr_workitem_id 0
		.amdhsa_next_free_vgpr 4
		.amdhsa_next_free_sgpr 28
		.amdhsa_named_barrier_count 0
		.amdhsa_reserve_vcc 1
		.amdhsa_float_round_mode_32 0
		.amdhsa_float_round_mode_16_64 0
		.amdhsa_float_denorm_mode_32 3
		.amdhsa_float_denorm_mode_16_64 3
		.amdhsa_fp16_overflow 0
		.amdhsa_memory_ordered 1
		.amdhsa_forward_progress 1
		.amdhsa_inst_pref_size 5
		.amdhsa_round_robin_scheduling 0
		.amdhsa_exception_fp_ieee_invalid_op 0
		.amdhsa_exception_fp_denorm_src 0
		.amdhsa_exception_fp_ieee_div_zero 0
		.amdhsa_exception_fp_ieee_overflow 0
		.amdhsa_exception_fp_ieee_underflow 0
		.amdhsa_exception_fp_ieee_inexact 0
		.amdhsa_exception_int_div_zero 0
	.end_amdhsa_kernel
	.section	.text._ZN9rocsolver6v33100L24stedc_mergeUpdate_kernelIdEEviiPT_lS3_iilS3_S3_Pi,"axG",@progbits,_ZN9rocsolver6v33100L24stedc_mergeUpdate_kernelIdEEviiPT_lS3_iilS3_S3_Pi,comdat
.Lfunc_end50:
	.size	_ZN9rocsolver6v33100L24stedc_mergeUpdate_kernelIdEEviiPT_lS3_iilS3_S3_Pi, .Lfunc_end50-_ZN9rocsolver6v33100L24stedc_mergeUpdate_kernelIdEEviiPT_lS3_iilS3_S3_Pi
                                        ; -- End function
	.set _ZN9rocsolver6v33100L24stedc_mergeUpdate_kernelIdEEviiPT_lS3_iilS3_S3_Pi.num_vgpr, 4
	.set _ZN9rocsolver6v33100L24stedc_mergeUpdate_kernelIdEEviiPT_lS3_iilS3_S3_Pi.num_agpr, 0
	.set _ZN9rocsolver6v33100L24stedc_mergeUpdate_kernelIdEEviiPT_lS3_iilS3_S3_Pi.numbered_sgpr, 28
	.set _ZN9rocsolver6v33100L24stedc_mergeUpdate_kernelIdEEviiPT_lS3_iilS3_S3_Pi.num_named_barrier, 0
	.set _ZN9rocsolver6v33100L24stedc_mergeUpdate_kernelIdEEviiPT_lS3_iilS3_S3_Pi.private_seg_size, 0
	.set _ZN9rocsolver6v33100L24stedc_mergeUpdate_kernelIdEEviiPT_lS3_iilS3_S3_Pi.uses_vcc, 1
	.set _ZN9rocsolver6v33100L24stedc_mergeUpdate_kernelIdEEviiPT_lS3_iilS3_S3_Pi.uses_flat_scratch, 0
	.set _ZN9rocsolver6v33100L24stedc_mergeUpdate_kernelIdEEviiPT_lS3_iilS3_S3_Pi.has_dyn_sized_stack, 0
	.set _ZN9rocsolver6v33100L24stedc_mergeUpdate_kernelIdEEviiPT_lS3_iilS3_S3_Pi.has_recursion, 0
	.set _ZN9rocsolver6v33100L24stedc_mergeUpdate_kernelIdEEviiPT_lS3_iilS3_S3_Pi.has_indirect_call, 0
	.section	.AMDGPU.csdata,"",@progbits
; Kernel info:
; codeLenInByte = 564
; TotalNumSgprs: 30
; NumVgprs: 4
; ScratchSize: 0
; MemoryBound: 0
; FloatMode: 240
; IeeeMode: 1
; LDSByteSize: 0 bytes/workgroup (compile time only)
; SGPRBlocks: 0
; VGPRBlocks: 0
; NumSGPRsForWavesPerEU: 30
; NumVGPRsForWavesPerEU: 4
; NamedBarCnt: 0
; Occupancy: 16
; WaveLimiterHint : 0
; COMPUTE_PGM_RSRC2:SCRATCH_EN: 0
; COMPUTE_PGM_RSRC2:USER_SGPR: 2
; COMPUTE_PGM_RSRC2:TRAP_HANDLER: 0
; COMPUTE_PGM_RSRC2:TGID_X_EN: 1
; COMPUTE_PGM_RSRC2:TGID_Y_EN: 1
; COMPUTE_PGM_RSRC2:TGID_Z_EN: 0
; COMPUTE_PGM_RSRC2:TIDIG_COMP_CNT: 0
	.section	.text._ZN9rocsolver6v33100L8copy_matIdPdNS0_7no_maskEEEvNS0_17copymat_directionEiiT0_iilPT_T1_13rocblas_fill_17rocblas_diagonal_,"axG",@progbits,_ZN9rocsolver6v33100L8copy_matIdPdNS0_7no_maskEEEvNS0_17copymat_directionEiiT0_iilPT_T1_13rocblas_fill_17rocblas_diagonal_,comdat
	.globl	_ZN9rocsolver6v33100L8copy_matIdPdNS0_7no_maskEEEvNS0_17copymat_directionEiiT0_iilPT_T1_13rocblas_fill_17rocblas_diagonal_ ; -- Begin function _ZN9rocsolver6v33100L8copy_matIdPdNS0_7no_maskEEEvNS0_17copymat_directionEiiT0_iilPT_T1_13rocblas_fill_17rocblas_diagonal_
	.p2align	8
	.type	_ZN9rocsolver6v33100L8copy_matIdPdNS0_7no_maskEEEvNS0_17copymat_directionEiiT0_iilPT_T1_13rocblas_fill_17rocblas_diagonal_,@function
_ZN9rocsolver6v33100L8copy_matIdPdNS0_7no_maskEEEvNS0_17copymat_directionEiiT0_iilPT_T1_13rocblas_fill_17rocblas_diagonal_: ; @_ZN9rocsolver6v33100L8copy_matIdPdNS0_7no_maskEEEvNS0_17copymat_directionEiiT0_iilPT_T1_13rocblas_fill_17rocblas_diagonal_
; %bb.0:
	s_clause 0x1
	s_load_b32 s2, s[0:1], 0x4c
	s_load_b96 s[12:14], s[0:1], 0x0
	s_bfe_u32 s5, ttmp6, 0x4000c
	s_bfe_u32 s7, ttmp6, 0x40010
	s_and_b32 s6, ttmp7, 0xffff
	s_add_co_i32 s5, s5, 1
	s_add_co_i32 s7, s7, 1
	s_and_b32 s4, ttmp6, 15
	s_bfe_u32 s8, ttmp6, 0x40004
	s_mul_i32 s5, ttmp9, s5
	s_mul_i32 s7, s6, s7
	s_getreg_b32 s3, hwreg(HW_REG_IB_STS2, 6, 4)
	v_bfe_u32 v1, v0, 10, 10
	v_and_b32_e32 v0, 0x3ff, v0
	s_add_co_i32 s4, s4, s5
	s_add_co_i32 s8, s8, s7
	s_wait_kmcnt 0x0
	s_lshr_b32 s5, s2, 16
	s_and_b32 s2, s2, 0xffff
	s_cmp_eq_u32 s3, 0
	s_cselect_b32 s4, ttmp9, s4
	s_cselect_b32 s6, s6, s8
	v_mad_u32 v0, s4, s2, v0
	v_mad_u32 v1, s6, s5, v1
	s_delay_alu instid0(VALU_DEP_2) | instskip(NEXT) | instid1(VALU_DEP_2)
	v_cmp_gt_u32_e32 vcc_lo, s13, v0
	v_cmp_gt_u32_e64 s2, s14, v1
	s_and_b32 s2, s2, vcc_lo
	s_delay_alu instid0(SALU_CYCLE_1)
	s_and_saveexec_b32 s4, s2
	s_cbranch_execz .LBB51_14
; %bb.1:
	s_load_b64 s[4:5], s[0:1], 0x34
	s_wait_kmcnt 0x0
	s_cmp_lt_i32 s4, 0x7a
	s_cbranch_scc1 .LBB51_4
; %bb.2:
	s_cmp_gt_i32 s4, 0x7a
	s_cbranch_scc0 .LBB51_5
; %bb.3:
	s_cmp_lg_u32 s4, 0x7b
	s_mov_b32 s6, -1
	s_cselect_b32 s7, -1, 0
	s_cbranch_execz .LBB51_6
	s_branch .LBB51_7
.LBB51_4:
	s_mov_b32 s7, 0
	s_mov_b32 s6, 0
	s_cbranch_execnz .LBB51_8
	s_branch .LBB51_10
.LBB51_5:
	s_mov_b32 s6, 0
	s_mov_b32 s7, 0
.LBB51_6:
	v_cmp_gt_u32_e32 vcc_lo, v0, v1
	v_cmp_le_u32_e64 s2, v0, v1
	s_and_not1_b32 s6, s6, exec_lo
	s_and_not1_b32 s7, s7, exec_lo
	s_and_b32 s8, vcc_lo, exec_lo
	s_and_b32 s2, s2, exec_lo
	s_or_b32 s6, s6, s8
	s_or_b32 s7, s7, s2
.LBB51_7:
	s_branch .LBB51_10
.LBB51_8:
	s_cmp_eq_u32 s4, 0x79
	s_mov_b32 s7, -1
	s_cbranch_scc0 .LBB51_10
; %bb.9:
	v_cmp_gt_u32_e32 vcc_lo, v1, v0
	v_cmp_le_u32_e64 s2, v1, v0
	s_and_not1_b32 s4, s6, exec_lo
	s_and_b32 s6, vcc_lo, exec_lo
	s_or_not1_b32 s7, s2, exec_lo
	s_or_b32 s6, s4, s6
.LBB51_10:
	s_and_saveexec_b32 s2, s7
; %bb.11:
	v_cmp_eq_u32_e32 vcc_lo, v0, v1
	s_cmp_eq_u32 s5, 0x83
	s_cselect_b32 s4, -1, 0
	s_and_not1_b32 s5, s6, exec_lo
	s_and_b32 s4, s4, vcc_lo
	s_delay_alu instid0(SALU_CYCLE_1) | instskip(NEXT) | instid1(SALU_CYCLE_1)
	s_and_b32 s4, s4, exec_lo
	s_or_b32 s6, s5, s4
; %bb.12:
	s_or_b32 exec_lo, exec_lo, s2
	s_delay_alu instid0(SALU_CYCLE_1)
	s_and_b32 exec_lo, exec_lo, s6
	s_cbranch_execz .LBB51_14
; %bb.13:
	s_load_b256 s[4:11], s[0:1], 0x10
	s_bfe_u32 s2, ttmp6, 0x40014
	s_lshr_b32 s16, ttmp7, 16
	s_add_co_i32 s2, s2, 1
	s_bfe_u32 s17, ttmp6, 0x40008
	s_mul_i32 s2, s16, s2
	s_wait_xcnt 0x0
	s_ashr_i32 s1, s13, 31
	s_ashr_i32 s15, s14, 31
	s_add_co_i32 s2, s17, s2
	s_mov_b32 s0, s13
	s_wait_kmcnt 0x0
	s_ashr_i32 s17, s6, 31
	s_cmp_eq_u32 s3, 0
	s_mov_b32 s3, 0
	s_cselect_b32 s2, s16, s2
	s_mov_b32 s16, s6
	s_mul_u64 s[0:1], s[0:1], s[2:3]
	s_mul_u64 s[8:9], s[8:9], s[2:3]
	;; [unrolled: 1-line block ×3, first 2 shown]
	s_lshl_b64 s[2:3], s[8:9], 3
	s_lshl_b64 s[8:9], s[16:17], 3
	;; [unrolled: 1-line block ×3, first 2 shown]
	s_cmp_eq_u32 s12, 0
	s_add_nc_u64 s[2:3], s[4:5], s[2:3]
	s_cselect_b32 s6, s7, s13
	s_add_nc_u64 s[2:3], s[2:3], s[8:9]
	v_mad_u32 v2, v1, s6, v0
	s_add_nc_u64 s[0:1], s[10:11], s[0:1]
	s_delay_alu instid0(SALU_CYCLE_1)
	s_cselect_b32 s5, s3, s1
	s_cselect_b32 s4, s2, s0
	;; [unrolled: 1-line block ×4, first 2 shown]
	global_load_b64 v[2:3], v2, s[4:5] scale_offset
	s_wait_xcnt 0x0
	s_cselect_b32 s4, s13, s7
	s_delay_alu instid0(SALU_CYCLE_1)
	v_mad_u32 v0, v1, s4, v0
	s_wait_loadcnt 0x0
	global_store_b64 v0, v[2:3], s[0:1] scale_offset
.LBB51_14:
	s_endpgm
	.section	.rodata,"a",@progbits
	.p2align	6, 0x0
	.amdhsa_kernel _ZN9rocsolver6v33100L8copy_matIdPdNS0_7no_maskEEEvNS0_17copymat_directionEiiT0_iilPT_T1_13rocblas_fill_17rocblas_diagonal_
		.amdhsa_group_segment_fixed_size 0
		.amdhsa_private_segment_fixed_size 0
		.amdhsa_kernarg_size 320
		.amdhsa_user_sgpr_count 2
		.amdhsa_user_sgpr_dispatch_ptr 0
		.amdhsa_user_sgpr_queue_ptr 0
		.amdhsa_user_sgpr_kernarg_segment_ptr 1
		.amdhsa_user_sgpr_dispatch_id 0
		.amdhsa_user_sgpr_kernarg_preload_length 0
		.amdhsa_user_sgpr_kernarg_preload_offset 0
		.amdhsa_user_sgpr_private_segment_size 0
		.amdhsa_wavefront_size32 1
		.amdhsa_uses_dynamic_stack 0
		.amdhsa_enable_private_segment 0
		.amdhsa_system_sgpr_workgroup_id_x 1
		.amdhsa_system_sgpr_workgroup_id_y 1
		.amdhsa_system_sgpr_workgroup_id_z 1
		.amdhsa_system_sgpr_workgroup_info 0
		.amdhsa_system_vgpr_workitem_id 1
		.amdhsa_next_free_vgpr 4
		.amdhsa_next_free_sgpr 18
		.amdhsa_named_barrier_count 0
		.amdhsa_reserve_vcc 1
		.amdhsa_float_round_mode_32 0
		.amdhsa_float_round_mode_16_64 0
		.amdhsa_float_denorm_mode_32 3
		.amdhsa_float_denorm_mode_16_64 3
		.amdhsa_fp16_overflow 0
		.amdhsa_memory_ordered 1
		.amdhsa_forward_progress 1
		.amdhsa_inst_pref_size 5
		.amdhsa_round_robin_scheduling 0
		.amdhsa_exception_fp_ieee_invalid_op 0
		.amdhsa_exception_fp_denorm_src 0
		.amdhsa_exception_fp_ieee_div_zero 0
		.amdhsa_exception_fp_ieee_overflow 0
		.amdhsa_exception_fp_ieee_underflow 0
		.amdhsa_exception_fp_ieee_inexact 0
		.amdhsa_exception_int_div_zero 0
	.end_amdhsa_kernel
	.section	.text._ZN9rocsolver6v33100L8copy_matIdPdNS0_7no_maskEEEvNS0_17copymat_directionEiiT0_iilPT_T1_13rocblas_fill_17rocblas_diagonal_,"axG",@progbits,_ZN9rocsolver6v33100L8copy_matIdPdNS0_7no_maskEEEvNS0_17copymat_directionEiiT0_iilPT_T1_13rocblas_fill_17rocblas_diagonal_,comdat
.Lfunc_end51:
	.size	_ZN9rocsolver6v33100L8copy_matIdPdNS0_7no_maskEEEvNS0_17copymat_directionEiiT0_iilPT_T1_13rocblas_fill_17rocblas_diagonal_, .Lfunc_end51-_ZN9rocsolver6v33100L8copy_matIdPdNS0_7no_maskEEEvNS0_17copymat_directionEiiT0_iilPT_T1_13rocblas_fill_17rocblas_diagonal_
                                        ; -- End function
	.set _ZN9rocsolver6v33100L8copy_matIdPdNS0_7no_maskEEEvNS0_17copymat_directionEiiT0_iilPT_T1_13rocblas_fill_17rocblas_diagonal_.num_vgpr, 4
	.set _ZN9rocsolver6v33100L8copy_matIdPdNS0_7no_maskEEEvNS0_17copymat_directionEiiT0_iilPT_T1_13rocblas_fill_17rocblas_diagonal_.num_agpr, 0
	.set _ZN9rocsolver6v33100L8copy_matIdPdNS0_7no_maskEEEvNS0_17copymat_directionEiiT0_iilPT_T1_13rocblas_fill_17rocblas_diagonal_.numbered_sgpr, 18
	.set _ZN9rocsolver6v33100L8copy_matIdPdNS0_7no_maskEEEvNS0_17copymat_directionEiiT0_iilPT_T1_13rocblas_fill_17rocblas_diagonal_.num_named_barrier, 0
	.set _ZN9rocsolver6v33100L8copy_matIdPdNS0_7no_maskEEEvNS0_17copymat_directionEiiT0_iilPT_T1_13rocblas_fill_17rocblas_diagonal_.private_seg_size, 0
	.set _ZN9rocsolver6v33100L8copy_matIdPdNS0_7no_maskEEEvNS0_17copymat_directionEiiT0_iilPT_T1_13rocblas_fill_17rocblas_diagonal_.uses_vcc, 1
	.set _ZN9rocsolver6v33100L8copy_matIdPdNS0_7no_maskEEEvNS0_17copymat_directionEiiT0_iilPT_T1_13rocblas_fill_17rocblas_diagonal_.uses_flat_scratch, 0
	.set _ZN9rocsolver6v33100L8copy_matIdPdNS0_7no_maskEEEvNS0_17copymat_directionEiiT0_iilPT_T1_13rocblas_fill_17rocblas_diagonal_.has_dyn_sized_stack, 0
	.set _ZN9rocsolver6v33100L8copy_matIdPdNS0_7no_maskEEEvNS0_17copymat_directionEiiT0_iilPT_T1_13rocblas_fill_17rocblas_diagonal_.has_recursion, 0
	.set _ZN9rocsolver6v33100L8copy_matIdPdNS0_7no_maskEEEvNS0_17copymat_directionEiiT0_iilPT_T1_13rocblas_fill_17rocblas_diagonal_.has_indirect_call, 0
	.section	.AMDGPU.csdata,"",@progbits
; Kernel info:
; codeLenInByte = 604
; TotalNumSgprs: 20
; NumVgprs: 4
; ScratchSize: 0
; MemoryBound: 0
; FloatMode: 240
; IeeeMode: 1
; LDSByteSize: 0 bytes/workgroup (compile time only)
; SGPRBlocks: 0
; VGPRBlocks: 0
; NumSGPRsForWavesPerEU: 20
; NumVGPRsForWavesPerEU: 4
; NamedBarCnt: 0
; Occupancy: 16
; WaveLimiterHint : 0
; COMPUTE_PGM_RSRC2:SCRATCH_EN: 0
; COMPUTE_PGM_RSRC2:USER_SGPR: 2
; COMPUTE_PGM_RSRC2:TRAP_HANDLER: 0
; COMPUTE_PGM_RSRC2:TGID_X_EN: 1
; COMPUTE_PGM_RSRC2:TGID_Y_EN: 1
; COMPUTE_PGM_RSRC2:TGID_Z_EN: 1
; COMPUTE_PGM_RSRC2:TIDIG_COMP_CNT: 1
	.section	.text._ZN9rocsolver6v33100L11stedc_copyDIdEEviPT_lS3_l,"axG",@progbits,_ZN9rocsolver6v33100L11stedc_copyDIdEEviPT_lS3_l,comdat
	.globl	_ZN9rocsolver6v33100L11stedc_copyDIdEEviPT_lS3_l ; -- Begin function _ZN9rocsolver6v33100L11stedc_copyDIdEEviPT_lS3_l
	.p2align	8
	.type	_ZN9rocsolver6v33100L11stedc_copyDIdEEviPT_lS3_l,@function
_ZN9rocsolver6v33100L11stedc_copyDIdEEviPT_lS3_l: ; @_ZN9rocsolver6v33100L11stedc_copyDIdEEviPT_lS3_l
; %bb.0:
	s_clause 0x1
	s_load_b32 s2, s[0:1], 0x34
	s_load_b32 s21, s[0:1], 0x0
	s_wait_kmcnt 0x0
	s_and_b32 s15, s2, 0xffff
	s_add_co_i32 s4, s21, -1
	s_lshl_b32 s20, s15, 4
	s_abs_i32 s5, s4
	s_cvt_f32_u32 s2, s20
	s_sub_co_i32 s3, 0, s20
	s_ashr_i32 s4, s4, 31
	s_delay_alu instid0(SALU_CYCLE_1) | instskip(SKIP_1) | instid1(TRANS32_DEP_1)
	v_rcp_iflag_f32_e32 v1, s2
	v_nop
	v_readfirstlane_b32 s2, v1
	s_mul_f32 s2, s2, 0x4f7ffffe
	s_delay_alu instid0(SALU_CYCLE_3) | instskip(NEXT) | instid1(SALU_CYCLE_3)
	s_cvt_u32_f32 s2, s2
	s_mul_i32 s3, s3, s2
	s_delay_alu instid0(SALU_CYCLE_1) | instskip(NEXT) | instid1(SALU_CYCLE_1)
	s_mul_hi_u32 s3, s2, s3
	s_add_co_i32 s2, s2, s3
	s_delay_alu instid0(SALU_CYCLE_1) | instskip(NEXT) | instid1(SALU_CYCLE_1)
	s_mul_hi_u32 s2, s5, s2
	s_mul_i32 s3, s2, s20
	s_delay_alu instid0(SALU_CYCLE_1)
	s_sub_co_i32 s3, s5, s3
	s_add_co_i32 s5, s2, 1
	s_sub_co_i32 s6, s3, s20
	s_cmp_ge_u32 s3, s20
	s_cselect_b32 s2, s5, s2
	s_cselect_b32 s3, s6, s3
	s_add_co_i32 s5, s2, 1
	s_cmp_ge_u32 s3, s20
	s_cselect_b32 s2, s5, s2
	s_delay_alu instid0(SALU_CYCLE_1) | instskip(NEXT) | instid1(SALU_CYCLE_1)
	s_xor_b32 s2, s2, s4
	s_sub_co_i32 s2, s2, s4
	s_delay_alu instid0(SALU_CYCLE_1)
	s_cmp_lt_i32 s2, 0
	s_cbranch_scc1 .LBB52_67
; %bb.1:
	s_load_b256 s[4:11], s[0:1], 0x8
	s_wait_xcnt 0x0
	s_bfe_u32 s0, ttmp6, 0x40010
	s_bfe_u32 s1, ttmp6, 0x40004
	s_add_co_i32 s0, s0, 1
	s_getreg_b32 s3, hwreg(HW_REG_IB_STS2, 6, 4)
	s_mul_i32 s0, ttmp7, s0
	v_mov_b32_e32 v2, 0
	s_add_co_i32 s1, s1, s0
	s_cmp_eq_u32 s3, 0
	s_mul_i32 s22, s15, 3
	s_cselect_b32 s0, ttmp7, s1
	s_add_co_i32 s26, s2, 1
	s_ashr_i32 s1, s0, 31
	v_dual_mov_b32 v3, v2 :: v_dual_mov_b32 v4, v2
	v_dual_mov_b32 v5, v2 :: v_dual_mov_b32 v6, v2
	;; [unrolled: 1-line block ×4, first 2 shown]
	s_wait_kmcnt 0x0
	s_mul_u64 s[2:3], s[6:7], s[0:1]
	s_mul_u64 s[0:1], s[10:11], s[0:1]
	v_dual_mov_b32 v11, v2 :: v_dual_mov_b32 v12, v2
	v_dual_mov_b32 v13, v2 :: v_dual_mov_b32 v14, v2
	;; [unrolled: 1-line block ×11, first 2 shown]
	v_mov_b32_e32 v33, v2
	s_lshl_b64 s[2:3], s[2:3], 3
	s_lshl_b64 s[0:1], s[0:1], 3
	s_mul_i32 s23, s15, 5
	s_mul_i32 s24, s15, 6
	;; [unrolled: 1-line block ×3, first 2 shown]
	s_lshl_b32 s27, s15, 1
	s_lshl_b32 s28, s15, 2
	;; [unrolled: 1-line block ×3, first 2 shown]
	s_add_nc_u64 s[16:17], s[4:5], s[2:3]
	s_add_nc_u64 s[18:19], s[8:9], s[0:1]
	s_mul_i32 s30, s15, 9
	s_mul_i32 s31, s15, 10
	;; [unrolled: 1-line block ×7, first 2 shown]
	s_branch .LBB52_3
.LBB52_2:                               ;   in Loop: Header=BB52_3 Depth=1
	s_wait_xcnt 0x0
	s_or_b32 exec_lo, exec_lo, s0
	v_add_nc_u32_e32 v0, s20, v0
	s_add_co_i32 s26, s26, -1
	s_delay_alu instid0(SALU_CYCLE_1)
	s_cmp_eq_u32 s26, 0
	s_cbranch_scc1 .LBB52_67
.LBB52_3:                               ; =>This Inner Loop Header: Depth=1
	s_delay_alu instid0(VALU_DEP_1)
	v_cmp_gt_i32_e32 vcc_lo, s21, v0
	s_and_saveexec_b32 s0, vcc_lo
	s_cbranch_execz .LBB52_5
; %bb.4:                                ;   in Loop: Header=BB52_3 Depth=1
	s_wait_loadcnt 0x0
	global_load_b64 v[2:3], v0, s[16:17] scale_offset
.LBB52_5:                               ;   in Loop: Header=BB52_3 Depth=1
	s_wait_xcnt 0x0
	s_or_b32 exec_lo, exec_lo, s0
	v_add_nc_u32_e32 v1, s15, v0
	s_delay_alu instid0(VALU_DEP_1)
	v_cmp_gt_i32_e64 s0, s21, v1
	s_and_saveexec_b32 s1, s0
	s_cbranch_execz .LBB52_7
; %bb.6:                                ;   in Loop: Header=BB52_3 Depth=1
	s_wait_loadcnt 0x0
	global_load_b64 v[4:5], v1, s[16:17] scale_offset
.LBB52_7:                               ;   in Loop: Header=BB52_3 Depth=1
	s_wait_xcnt 0x0
	s_or_b32 exec_lo, exec_lo, s1
	v_dual_add_nc_u32 v35, s15, v1 :: v_dual_add_nc_u32 v34, s27, v0
	s_delay_alu instid0(VALU_DEP_1)
	v_cmp_gt_i32_e64 s1, s21, v35
	s_and_saveexec_b32 s2, s1
	s_cbranch_execz .LBB52_9
; %bb.8:                                ;   in Loop: Header=BB52_3 Depth=1
	s_wait_loadcnt 0x0
	global_load_b64 v[6:7], v34, s[16:17] scale_offset
.LBB52_9:                               ;   in Loop: Header=BB52_3 Depth=1
	s_wait_xcnt 0x0
	s_or_b32 exec_lo, exec_lo, s2
	v_dual_add_nc_u32 v36, s15, v35 :: v_dual_add_nc_u32 v35, s22, v0
	s_delay_alu instid0(VALU_DEP_1)
	v_cmp_gt_i32_e64 s2, s21, v36
	s_and_saveexec_b32 s3, s2
	s_cbranch_execz .LBB52_11
; %bb.10:                               ;   in Loop: Header=BB52_3 Depth=1
	s_wait_loadcnt 0x0
	global_load_b64 v[8:9], v35, s[16:17] scale_offset
.LBB52_11:                              ;   in Loop: Header=BB52_3 Depth=1
	s_wait_xcnt 0x0
	s_or_b32 exec_lo, exec_lo, s3
	v_add_nc_u32_e32 v37, s15, v36
	v_add_nc_u32_e32 v36, s28, v0
	s_delay_alu instid0(VALU_DEP_2)
	v_cmp_gt_i32_e64 s3, s21, v37
	s_and_saveexec_b32 s4, s3
	s_cbranch_execz .LBB52_13
; %bb.12:                               ;   in Loop: Header=BB52_3 Depth=1
	s_wait_loadcnt 0x0
	global_load_b64 v[10:11], v36, s[16:17] scale_offset
.LBB52_13:                              ;   in Loop: Header=BB52_3 Depth=1
	s_wait_xcnt 0x0
	s_or_b32 exec_lo, exec_lo, s4
	v_dual_add_nc_u32 v38, s15, v37 :: v_dual_add_nc_u32 v37, s23, v0
	s_delay_alu instid0(VALU_DEP_1)
	v_cmp_gt_i32_e64 s4, s21, v38
	s_and_saveexec_b32 s5, s4
	s_cbranch_execz .LBB52_15
; %bb.14:                               ;   in Loop: Header=BB52_3 Depth=1
	s_wait_loadcnt 0x0
	global_load_b64 v[12:13], v37, s[16:17] scale_offset
.LBB52_15:                              ;   in Loop: Header=BB52_3 Depth=1
	s_wait_xcnt 0x0
	s_or_b32 exec_lo, exec_lo, s5
	v_dual_add_nc_u32 v39, s15, v38 :: v_dual_add_nc_u32 v38, s24, v0
	s_delay_alu instid0(VALU_DEP_1)
	v_cmp_gt_i32_e64 s5, s21, v39
	s_and_saveexec_b32 s6, s5
	s_cbranch_execz .LBB52_17
; %bb.16:                               ;   in Loop: Header=BB52_3 Depth=1
	s_wait_loadcnt 0x0
	global_load_b64 v[14:15], v38, s[16:17] scale_offset
.LBB52_17:                              ;   in Loop: Header=BB52_3 Depth=1
	s_wait_xcnt 0x0
	s_or_b32 exec_lo, exec_lo, s6
	v_dual_add_nc_u32 v40, s15, v39 :: v_dual_add_nc_u32 v39, s25, v0
	s_delay_alu instid0(VALU_DEP_1)
	v_cmp_gt_i32_e64 s6, s21, v40
	s_and_saveexec_b32 s7, s6
	s_cbranch_execz .LBB52_19
; %bb.18:                               ;   in Loop: Header=BB52_3 Depth=1
	s_wait_loadcnt 0x0
	global_load_b64 v[16:17], v39, s[16:17] scale_offset
.LBB52_19:                              ;   in Loop: Header=BB52_3 Depth=1
	s_wait_xcnt 0x0
	s_or_b32 exec_lo, exec_lo, s7
	v_add_nc_u32_e32 v41, s15, v40
	v_add_nc_u32_e32 v40, s29, v0
	s_delay_alu instid0(VALU_DEP_2)
	v_cmp_gt_i32_e64 s7, s21, v41
	s_and_saveexec_b32 s8, s7
	s_cbranch_execz .LBB52_21
; %bb.20:                               ;   in Loop: Header=BB52_3 Depth=1
	s_wait_loadcnt 0x0
	global_load_b64 v[18:19], v40, s[16:17] scale_offset
.LBB52_21:                              ;   in Loop: Header=BB52_3 Depth=1
	s_wait_xcnt 0x0
	s_or_b32 exec_lo, exec_lo, s8
	v_dual_add_nc_u32 v42, s15, v41 :: v_dual_add_nc_u32 v41, s30, v0
	s_delay_alu instid0(VALU_DEP_1)
	v_cmp_gt_i32_e64 s8, s21, v42
	s_and_saveexec_b32 s9, s8
	s_cbranch_execz .LBB52_23
; %bb.22:                               ;   in Loop: Header=BB52_3 Depth=1
	s_wait_loadcnt 0x0
	global_load_b64 v[20:21], v41, s[16:17] scale_offset
.LBB52_23:                              ;   in Loop: Header=BB52_3 Depth=1
	s_wait_xcnt 0x0
	s_or_b32 exec_lo, exec_lo, s9
	v_dual_add_nc_u32 v43, s15, v42 :: v_dual_add_nc_u32 v42, s31, v0
	s_delay_alu instid0(VALU_DEP_1)
	v_cmp_gt_i32_e64 s9, s21, v43
	s_and_saveexec_b32 s10, s9
	s_cbranch_execz .LBB52_25
; %bb.24:                               ;   in Loop: Header=BB52_3 Depth=1
	s_wait_loadcnt 0x0
	global_load_b64 v[22:23], v42, s[16:17] scale_offset
.LBB52_25:                              ;   in Loop: Header=BB52_3 Depth=1
	;; [unrolled: 45-line block ×3, first 2 shown]
	s_wait_xcnt 0x0
	s_or_b32 exec_lo, exec_lo, s14
	v_dual_add_nc_u32 v48, s15, v47 :: v_dual_add_nc_u32 v47, s37, v0
	s_delay_alu instid0(VALU_DEP_1)
	v_cmp_gt_i32_e64 s14, s21, v48
	s_and_saveexec_b32 s38, s14
	s_cbranch_execnz .LBB52_50
; %bb.34:                               ;   in Loop: Header=BB52_3 Depth=1
	s_or_b32 exec_lo, exec_lo, s38
	s_and_saveexec_b32 s38, vcc_lo
	s_cbranch_execnz .LBB52_51
.LBB52_35:                              ;   in Loop: Header=BB52_3 Depth=1
	s_or_b32 exec_lo, exec_lo, s38
	s_and_saveexec_b32 s38, s0
	s_cbranch_execnz .LBB52_52
.LBB52_36:                              ;   in Loop: Header=BB52_3 Depth=1
	s_or_b32 exec_lo, exec_lo, s38
	s_and_saveexec_b32 s0, s1
	s_cbranch_execnz .LBB52_53
.LBB52_37:                              ;   in Loop: Header=BB52_3 Depth=1
	s_or_b32 exec_lo, exec_lo, s0
	s_and_saveexec_b32 s0, s2
	s_cbranch_execnz .LBB52_54
.LBB52_38:                              ;   in Loop: Header=BB52_3 Depth=1
	s_or_b32 exec_lo, exec_lo, s0
	s_and_saveexec_b32 s0, s3
	s_cbranch_execnz .LBB52_55
.LBB52_39:                              ;   in Loop: Header=BB52_3 Depth=1
	s_or_b32 exec_lo, exec_lo, s0
	s_and_saveexec_b32 s0, s4
	s_cbranch_execnz .LBB52_56
.LBB52_40:                              ;   in Loop: Header=BB52_3 Depth=1
	s_or_b32 exec_lo, exec_lo, s0
	s_and_saveexec_b32 s0, s5
	s_cbranch_execnz .LBB52_57
.LBB52_41:                              ;   in Loop: Header=BB52_3 Depth=1
	s_or_b32 exec_lo, exec_lo, s0
	s_and_saveexec_b32 s0, s6
	s_cbranch_execnz .LBB52_58
.LBB52_42:                              ;   in Loop: Header=BB52_3 Depth=1
	s_or_b32 exec_lo, exec_lo, s0
	s_and_saveexec_b32 s0, s7
	s_cbranch_execnz .LBB52_59
.LBB52_43:                              ;   in Loop: Header=BB52_3 Depth=1
	s_or_b32 exec_lo, exec_lo, s0
	s_and_saveexec_b32 s0, s8
	s_cbranch_execnz .LBB52_60
.LBB52_44:                              ;   in Loop: Header=BB52_3 Depth=1
	s_or_b32 exec_lo, exec_lo, s0
	s_and_saveexec_b32 s0, s9
	s_cbranch_execnz .LBB52_61
.LBB52_45:                              ;   in Loop: Header=BB52_3 Depth=1
	s_or_b32 exec_lo, exec_lo, s0
	s_and_saveexec_b32 s0, s10
	s_cbranch_execnz .LBB52_62
.LBB52_46:                              ;   in Loop: Header=BB52_3 Depth=1
	s_or_b32 exec_lo, exec_lo, s0
	s_and_saveexec_b32 s0, s11
	s_cbranch_execnz .LBB52_63
.LBB52_47:                              ;   in Loop: Header=BB52_3 Depth=1
	s_or_b32 exec_lo, exec_lo, s0
	s_and_saveexec_b32 s0, s12
	s_cbranch_execnz .LBB52_64
.LBB52_48:                              ;   in Loop: Header=BB52_3 Depth=1
	s_or_b32 exec_lo, exec_lo, s0
	s_and_saveexec_b32 s0, s13
	s_cbranch_execnz .LBB52_65
.LBB52_49:                              ;   in Loop: Header=BB52_3 Depth=1
	s_or_b32 exec_lo, exec_lo, s0
	s_and_saveexec_b32 s0, s14
	s_cbranch_execz .LBB52_2
	s_branch .LBB52_66
.LBB52_50:                              ;   in Loop: Header=BB52_3 Depth=1
	s_wait_loadcnt 0x0
	global_load_b64 v[32:33], v47, s[16:17] scale_offset
	s_wait_xcnt 0x0
	s_or_b32 exec_lo, exec_lo, s38
	s_and_saveexec_b32 s38, vcc_lo
	s_cbranch_execz .LBB52_35
.LBB52_51:                              ;   in Loop: Header=BB52_3 Depth=1
	s_wait_loadcnt 0x0
	global_store_b64 v0, v[2:3], s[18:19] scale_offset
	s_wait_xcnt 0x0
	s_or_b32 exec_lo, exec_lo, s38
	s_and_saveexec_b32 s38, s0
	s_cbranch_execz .LBB52_36
.LBB52_52:                              ;   in Loop: Header=BB52_3 Depth=1
	s_wait_loadcnt 0x0
	global_store_b64 v1, v[4:5], s[18:19] scale_offset
	s_wait_xcnt 0x0
	s_or_b32 exec_lo, exec_lo, s38
	s_and_saveexec_b32 s0, s1
	s_cbranch_execz .LBB52_37
.LBB52_53:                              ;   in Loop: Header=BB52_3 Depth=1
	s_wait_loadcnt 0x0
	global_store_b64 v34, v[6:7], s[18:19] scale_offset
	s_wait_xcnt 0x0
	s_or_b32 exec_lo, exec_lo, s0
	s_and_saveexec_b32 s0, s2
	s_cbranch_execz .LBB52_38
.LBB52_54:                              ;   in Loop: Header=BB52_3 Depth=1
	s_wait_loadcnt 0x0
	global_store_b64 v35, v[8:9], s[18:19] scale_offset
	s_wait_xcnt 0x0
	s_or_b32 exec_lo, exec_lo, s0
	s_and_saveexec_b32 s0, s3
	s_cbranch_execz .LBB52_39
.LBB52_55:                              ;   in Loop: Header=BB52_3 Depth=1
	s_wait_loadcnt 0x0
	global_store_b64 v36, v[10:11], s[18:19] scale_offset
	s_wait_xcnt 0x0
	s_or_b32 exec_lo, exec_lo, s0
	s_and_saveexec_b32 s0, s4
	s_cbranch_execz .LBB52_40
.LBB52_56:                              ;   in Loop: Header=BB52_3 Depth=1
	s_wait_loadcnt 0x0
	global_store_b64 v37, v[12:13], s[18:19] scale_offset
	s_wait_xcnt 0x0
	s_or_b32 exec_lo, exec_lo, s0
	s_and_saveexec_b32 s0, s5
	s_cbranch_execz .LBB52_41
.LBB52_57:                              ;   in Loop: Header=BB52_3 Depth=1
	s_wait_loadcnt 0x0
	global_store_b64 v38, v[14:15], s[18:19] scale_offset
	s_wait_xcnt 0x0
	s_or_b32 exec_lo, exec_lo, s0
	s_and_saveexec_b32 s0, s6
	s_cbranch_execz .LBB52_42
.LBB52_58:                              ;   in Loop: Header=BB52_3 Depth=1
	s_wait_loadcnt 0x0
	global_store_b64 v39, v[16:17], s[18:19] scale_offset
	s_wait_xcnt 0x0
	s_or_b32 exec_lo, exec_lo, s0
	s_and_saveexec_b32 s0, s7
	s_cbranch_execz .LBB52_43
.LBB52_59:                              ;   in Loop: Header=BB52_3 Depth=1
	s_wait_loadcnt 0x0
	global_store_b64 v40, v[18:19], s[18:19] scale_offset
	s_wait_xcnt 0x0
	s_or_b32 exec_lo, exec_lo, s0
	s_and_saveexec_b32 s0, s8
	s_cbranch_execz .LBB52_44
.LBB52_60:                              ;   in Loop: Header=BB52_3 Depth=1
	s_wait_loadcnt 0x0
	global_store_b64 v41, v[20:21], s[18:19] scale_offset
	s_wait_xcnt 0x0
	s_or_b32 exec_lo, exec_lo, s0
	s_and_saveexec_b32 s0, s9
	s_cbranch_execz .LBB52_45
.LBB52_61:                              ;   in Loop: Header=BB52_3 Depth=1
	s_wait_loadcnt 0x0
	global_store_b64 v42, v[22:23], s[18:19] scale_offset
	s_wait_xcnt 0x0
	s_or_b32 exec_lo, exec_lo, s0
	s_and_saveexec_b32 s0, s10
	s_cbranch_execz .LBB52_46
.LBB52_62:                              ;   in Loop: Header=BB52_3 Depth=1
	s_wait_loadcnt 0x0
	global_store_b64 v43, v[24:25], s[18:19] scale_offset
	s_wait_xcnt 0x0
	s_or_b32 exec_lo, exec_lo, s0
	s_and_saveexec_b32 s0, s11
	s_cbranch_execz .LBB52_47
.LBB52_63:                              ;   in Loop: Header=BB52_3 Depth=1
	s_wait_loadcnt 0x0
	global_store_b64 v44, v[26:27], s[18:19] scale_offset
	s_wait_xcnt 0x0
	s_or_b32 exec_lo, exec_lo, s0
	s_and_saveexec_b32 s0, s12
	s_cbranch_execz .LBB52_48
.LBB52_64:                              ;   in Loop: Header=BB52_3 Depth=1
	s_wait_loadcnt 0x0
	global_store_b64 v45, v[28:29], s[18:19] scale_offset
	s_wait_xcnt 0x0
	s_or_b32 exec_lo, exec_lo, s0
	s_and_saveexec_b32 s0, s13
	s_cbranch_execz .LBB52_49
.LBB52_65:                              ;   in Loop: Header=BB52_3 Depth=1
	s_wait_loadcnt 0x0
	global_store_b64 v46, v[30:31], s[18:19] scale_offset
	s_wait_xcnt 0x0
	s_or_b32 exec_lo, exec_lo, s0
	s_and_saveexec_b32 s0, s14
	s_cbranch_execz .LBB52_2
.LBB52_66:                              ;   in Loop: Header=BB52_3 Depth=1
	s_wait_loadcnt 0x0
	global_store_b64 v47, v[32:33], s[18:19] scale_offset
	s_branch .LBB52_2
.LBB52_67:
	s_endpgm
	.section	.rodata,"a",@progbits
	.p2align	6, 0x0
	.amdhsa_kernel _ZN9rocsolver6v33100L11stedc_copyDIdEEviPT_lS3_l
		.amdhsa_group_segment_fixed_size 0
		.amdhsa_private_segment_fixed_size 0
		.amdhsa_kernarg_size 296
		.amdhsa_user_sgpr_count 2
		.amdhsa_user_sgpr_dispatch_ptr 0
		.amdhsa_user_sgpr_queue_ptr 0
		.amdhsa_user_sgpr_kernarg_segment_ptr 1
		.amdhsa_user_sgpr_dispatch_id 0
		.amdhsa_user_sgpr_kernarg_preload_length 0
		.amdhsa_user_sgpr_kernarg_preload_offset 0
		.amdhsa_user_sgpr_private_segment_size 0
		.amdhsa_wavefront_size32 1
		.amdhsa_uses_dynamic_stack 0
		.amdhsa_enable_private_segment 0
		.amdhsa_system_sgpr_workgroup_id_x 1
		.amdhsa_system_sgpr_workgroup_id_y 1
		.amdhsa_system_sgpr_workgroup_id_z 0
		.amdhsa_system_sgpr_workgroup_info 0
		.amdhsa_system_vgpr_workitem_id 0
		.amdhsa_next_free_vgpr 49
		.amdhsa_next_free_sgpr 39
		.amdhsa_named_barrier_count 0
		.amdhsa_reserve_vcc 1
		.amdhsa_float_round_mode_32 0
		.amdhsa_float_round_mode_16_64 0
		.amdhsa_float_denorm_mode_32 3
		.amdhsa_float_denorm_mode_16_64 3
		.amdhsa_fp16_overflow 0
		.amdhsa_memory_ordered 1
		.amdhsa_forward_progress 1
		.amdhsa_inst_pref_size 17
		.amdhsa_round_robin_scheduling 0
		.amdhsa_exception_fp_ieee_invalid_op 0
		.amdhsa_exception_fp_denorm_src 0
		.amdhsa_exception_fp_ieee_div_zero 0
		.amdhsa_exception_fp_ieee_overflow 0
		.amdhsa_exception_fp_ieee_underflow 0
		.amdhsa_exception_fp_ieee_inexact 0
		.amdhsa_exception_int_div_zero 0
	.end_amdhsa_kernel
	.section	.text._ZN9rocsolver6v33100L11stedc_copyDIdEEviPT_lS3_l,"axG",@progbits,_ZN9rocsolver6v33100L11stedc_copyDIdEEviPT_lS3_l,comdat
.Lfunc_end52:
	.size	_ZN9rocsolver6v33100L11stedc_copyDIdEEviPT_lS3_l, .Lfunc_end52-_ZN9rocsolver6v33100L11stedc_copyDIdEEviPT_lS3_l
                                        ; -- End function
	.set _ZN9rocsolver6v33100L11stedc_copyDIdEEviPT_lS3_l.num_vgpr, 49
	.set _ZN9rocsolver6v33100L11stedc_copyDIdEEviPT_lS3_l.num_agpr, 0
	.set _ZN9rocsolver6v33100L11stedc_copyDIdEEviPT_lS3_l.numbered_sgpr, 39
	.set _ZN9rocsolver6v33100L11stedc_copyDIdEEviPT_lS3_l.num_named_barrier, 0
	.set _ZN9rocsolver6v33100L11stedc_copyDIdEEviPT_lS3_l.private_seg_size, 0
	.set _ZN9rocsolver6v33100L11stedc_copyDIdEEviPT_lS3_l.uses_vcc, 1
	.set _ZN9rocsolver6v33100L11stedc_copyDIdEEviPT_lS3_l.uses_flat_scratch, 0
	.set _ZN9rocsolver6v33100L11stedc_copyDIdEEviPT_lS3_l.has_dyn_sized_stack, 0
	.set _ZN9rocsolver6v33100L11stedc_copyDIdEEviPT_lS3_l.has_recursion, 0
	.set _ZN9rocsolver6v33100L11stedc_copyDIdEEviPT_lS3_l.has_indirect_call, 0
	.section	.AMDGPU.csdata,"",@progbits
; Kernel info:
; codeLenInByte = 2052
; TotalNumSgprs: 41
; NumVgprs: 49
; ScratchSize: 0
; MemoryBound: 0
; FloatMode: 240
; IeeeMode: 1
; LDSByteSize: 0 bytes/workgroup (compile time only)
; SGPRBlocks: 0
; VGPRBlocks: 3
; NumSGPRsForWavesPerEU: 41
; NumVGPRsForWavesPerEU: 49
; NamedBarCnt: 0
; Occupancy: 16
; WaveLimiterHint : 0
; COMPUTE_PGM_RSRC2:SCRATCH_EN: 0
; COMPUTE_PGM_RSRC2:USER_SGPR: 2
; COMPUTE_PGM_RSRC2:TRAP_HANDLER: 0
; COMPUTE_PGM_RSRC2:TGID_X_EN: 1
; COMPUTE_PGM_RSRC2:TGID_Y_EN: 1
; COMPUTE_PGM_RSRC2:TGID_Z_EN: 0
; COMPUTE_PGM_RSRC2:TIDIG_COMP_CNT: 0
	.section	.text._ZN9rocsolver6v33100L10stedc_sortIddPdS2_EEviPT0_lS4_lT1_iilT2_iil,"axG",@progbits,_ZN9rocsolver6v33100L10stedc_sortIddPdS2_EEviPT0_lS4_lT1_iilT2_iil,comdat
	.globl	_ZN9rocsolver6v33100L10stedc_sortIddPdS2_EEviPT0_lS4_lT1_iilT2_iil ; -- Begin function _ZN9rocsolver6v33100L10stedc_sortIddPdS2_EEviPT0_lS4_lT1_iilT2_iil
	.p2align	8
	.type	_ZN9rocsolver6v33100L10stedc_sortIddPdS2_EEviPT0_lS4_lT1_iilT2_iil,@function
_ZN9rocsolver6v33100L10stedc_sortIddPdS2_EEviPT0_lS4_lT1_iilT2_iil: ; @_ZN9rocsolver6v33100L10stedc_sortIddPdS2_EEviPT0_lS4_lT1_iilT2_iil
; %bb.0:
	s_clause 0x1
	s_load_b32 s2, s[0:1], 0x64
	s_load_b64 s[28:29], s[0:1], 0x28
	s_bfe_u32 s4, ttmp6, 0x4000c
	s_bfe_u32 s5, ttmp6, 0x40010
	s_add_co_i32 s4, s4, 1
	s_add_co_i32 s5, s5, 1
	s_and_b32 s3, ttmp6, 15
	s_bfe_u32 s6, ttmp6, 0x40004
	s_mul_i32 s4, ttmp9, s4
	s_mul_i32 s5, ttmp7, s5
	s_getreg_b32 s7, hwreg(HW_REG_IB_STS2, 6, 4)
	s_add_co_i32 s3, s3, s4
	s_add_co_i32 s6, s6, s5
	s_cmp_eq_u32 s7, 0
	s_load_b256 s[16:23], s[0:1], 0x8
	s_cselect_b32 s24, ttmp9, s3
	s_cselect_b32 s26, ttmp7, s6
	s_load_b32 s38, s[0:1], 0x0
	s_ashr_i32 s27, s26, 31
	s_ashr_i32 s25, s24, 31
	s_wait_kmcnt 0x0
	s_and_b32 s33, s2, 0xffff
	s_lshl_b64 s[30:31], s[24:25], 3
	s_lshl_b32 s39, s33, 4
	s_mul_i32 s25, s33, 5
	s_cvt_f32_u32 s2, s39
	s_sub_co_i32 s8, 0, s39
	s_mul_i32 s40, s33, 6
	s_mul_i32 s41, s33, 7
	v_rcp_iflag_f32_e32 v1, s2
	s_mov_b32 s2, -1
	s_mul_i32 s42, s33, 9
	s_mul_i32 s43, s33, 10
	s_mul_i32 s44, s33, 11
	s_mul_i32 s45, s33, 12
	s_mul_u64 s[4:5], s[18:19], s[26:27]
	v_nop
	v_readfirstlane_b32 s3, v1
	s_lshl_b64 s[4:5], s[4:5], 3
	s_add_co_i32 s6, s38, -1
	s_add_nc_u64 s[36:37], s[16:17], s[4:5]
	s_ashr_i32 s7, s6, 31
	s_mul_f32 s3, s3, 0x4f7ffffe
	s_abs_i32 s6, s6
	s_add_nc_u64 s[4:5], s[36:37], s[30:31]
	s_mul_i32 s19, s33, 3
	s_cvt_u32_f32 s3, s3
	s_load_b64 s[34:35], s[4:5], 0x0
	s_mul_i32 s46, s33, 13
	s_mul_i32 s47, s33, 14
	;; [unrolled: 1-line block ×4, first 2 shown]
	s_mul_hi_u32 s8, s3, s8
	s_delay_alu instid0(SALU_CYCLE_1) | instskip(NEXT) | instid1(SALU_CYCLE_1)
	s_add_co_i32 s3, s3, s8
	s_mul_hi_u32 s3, s6, s3
	s_delay_alu instid0(SALU_CYCLE_1) | instskip(SKIP_3) | instid1(SALU_CYCLE_1)
	s_mul_i32 s8, s3, s39
	s_wait_xcnt 0x0
	s_add_co_i32 s5, s3, 1
	s_sub_co_i32 s4, s6, s8
	s_sub_co_i32 s6, s4, s39
	s_cmp_ge_u32 s4, s39
	s_cselect_b32 s3, s5, s3
	s_cselect_b32 s4, s6, s4
	s_add_co_i32 s5, s3, 1
	s_cmp_ge_u32 s4, s39
	s_cselect_b32 s3, s5, s3
	s_delay_alu instid0(SALU_CYCLE_1) | instskip(NEXT) | instid1(SALU_CYCLE_1)
	s_xor_b32 s3, s3, s7
	s_sub_co_i32 s49, s3, s7
	s_delay_alu instid0(SALU_CYCLE_1)
	s_cmp_gt_i32 s49, -1
	s_cselect_b32 s50, -1, 0
	s_cmp_lt_i32 s49, 0
	s_cbranch_scc1 .LBB53_67
; %bb.1:
	v_dual_mov_b32 v34, 0 :: v_dual_mov_b32 v1, v0
	s_add_co_i32 s51, s49, 1
	s_lshl_b32 s52, s33, 1
	s_lshl_b32 s53, s33, 2
	s_delay_alu instid0(VALU_DEP_1)
	v_dual_mov_b32 v35, v34 :: v_dual_mov_b32 v36, v34
	v_dual_mov_b32 v37, v34 :: v_dual_mov_b32 v38, v34
	;; [unrolled: 1-line block ×15, first 2 shown]
	v_mov_b32_e32 v65, v34
	v_mov_b64_e32 v[2:3], v[34:35]
	v_mov_b64_e32 v[4:5], v[36:37]
	;; [unrolled: 1-line block ×16, first 2 shown]
	s_lshl_b32 s54, s33, 3
	s_branch .LBB53_3
.LBB53_2:                               ;   in Loop: Header=BB53_3 Depth=1
	s_or_b32 exec_lo, exec_lo, s4
	v_add_nc_u32_e32 v1, s39, v1
	s_add_co_i32 s51, s51, -1
	s_delay_alu instid0(SALU_CYCLE_1)
	s_cmp_eq_u32 s51, 0
	s_cbranch_scc1 .LBB53_68
.LBB53_3:                               ; =>This Inner Loop Header: Depth=1
	s_delay_alu instid0(VALU_DEP_1)
	v_cmp_gt_i32_e64 s16, s38, v1
	s_and_saveexec_b32 s2, s16
	s_cbranch_execz .LBB53_5
; %bb.4:                                ;   in Loop: Header=BB53_3 Depth=1
	s_wait_loadcnt 0x0
	global_load_b64 v[2:3], v1, s[36:37] scale_offset
.LBB53_5:                               ;   in Loop: Header=BB53_3 Depth=1
	s_wait_xcnt 0x0
	s_or_b32 exec_lo, exec_lo, s2
	v_add_nc_u32_e32 v51, s33, v1
	s_delay_alu instid0(VALU_DEP_1)
	v_cmp_gt_i32_e64 s15, s38, v51
	s_and_saveexec_b32 s2, s15
	s_cbranch_execz .LBB53_7
; %bb.6:                                ;   in Loop: Header=BB53_3 Depth=1
	s_wait_loadcnt 0x0
	global_load_b64 v[4:5], v51, s[36:37] scale_offset
.LBB53_7:                               ;   in Loop: Header=BB53_3 Depth=1
	s_wait_xcnt 0x0
	s_or_b32 exec_lo, exec_lo, s2
	v_add_nc_u32_e32 v50, s52, v1
	;; [unrolled: 11-line block ×3, first 2 shown]
	s_delay_alu instid0(VALU_DEP_1)
	v_cmp_gt_i32_e64 s13, s38, v49
	s_and_saveexec_b32 s2, s13
	s_cbranch_execz .LBB53_11
; %bb.10:                               ;   in Loop: Header=BB53_3 Depth=1
	s_wait_loadcnt 0x0
	global_load_b64 v[8:9], v49, s[36:37] scale_offset
.LBB53_11:                              ;   in Loop: Header=BB53_3 Depth=1
	s_wait_xcnt 0x0
	s_or_b32 exec_lo, exec_lo, s2
	v_add_nc_u32_e32 v48, s53, v1
	s_delay_alu instid0(VALU_DEP_1)
	v_cmp_gt_i32_e64 s12, s38, v48
	s_and_saveexec_b32 s2, s12
	s_cbranch_execz .LBB53_13
; %bb.12:                               ;   in Loop: Header=BB53_3 Depth=1
	s_wait_loadcnt 0x0
	global_load_b64 v[10:11], v48, s[36:37] scale_offset
.LBB53_13:                              ;   in Loop: Header=BB53_3 Depth=1
	s_wait_xcnt 0x0
	s_or_b32 exec_lo, exec_lo, s2
	v_add_nc_u32_e32 v47, s25, v1
	;; [unrolled: 11-line block ×12, first 2 shown]
	s_delay_alu instid0(VALU_DEP_1)
	v_cmp_gt_i32_e32 vcc_lo, s38, v37
	s_and_saveexec_b32 s17, vcc_lo
	s_cbranch_execnz .LBB53_50
; %bb.34:                               ;   in Loop: Header=BB53_3 Depth=1
	s_or_b32 exec_lo, exec_lo, s17
	s_and_saveexec_b32 s55, s16
	s_cbranch_execnz .LBB53_51
.LBB53_35:                              ;   in Loop: Header=BB53_3 Depth=1
	s_or_b32 exec_lo, exec_lo, s55
	s_and_saveexec_b32 s18, s15
	s_cbranch_execnz .LBB53_52
.LBB53_36:                              ;   in Loop: Header=BB53_3 Depth=1
	s_or_b32 exec_lo, exec_lo, s18
	s_and_saveexec_b32 s17, s14
	s_cbranch_execnz .LBB53_53
.LBB53_37:                              ;   in Loop: Header=BB53_3 Depth=1
	s_or_b32 exec_lo, exec_lo, s17
	s_and_saveexec_b32 s16, s13
	s_cbranch_execnz .LBB53_54
.LBB53_38:                              ;   in Loop: Header=BB53_3 Depth=1
	s_or_b32 exec_lo, exec_lo, s16
	s_and_saveexec_b32 s15, s12
	s_cbranch_execnz .LBB53_55
.LBB53_39:                              ;   in Loop: Header=BB53_3 Depth=1
	s_or_b32 exec_lo, exec_lo, s15
	s_and_saveexec_b32 s14, s11
	s_cbranch_execnz .LBB53_56
.LBB53_40:                              ;   in Loop: Header=BB53_3 Depth=1
	s_or_b32 exec_lo, exec_lo, s14
	s_and_saveexec_b32 s13, s10
	s_cbranch_execnz .LBB53_57
.LBB53_41:                              ;   in Loop: Header=BB53_3 Depth=1
	s_or_b32 exec_lo, exec_lo, s13
	s_and_saveexec_b32 s12, s9
	s_cbranch_execnz .LBB53_58
.LBB53_42:                              ;   in Loop: Header=BB53_3 Depth=1
	s_or_b32 exec_lo, exec_lo, s12
	s_and_saveexec_b32 s11, s8
	s_cbranch_execnz .LBB53_59
.LBB53_43:                              ;   in Loop: Header=BB53_3 Depth=1
	s_or_b32 exec_lo, exec_lo, s11
	s_and_saveexec_b32 s10, s7
	s_cbranch_execnz .LBB53_60
.LBB53_44:                              ;   in Loop: Header=BB53_3 Depth=1
	s_or_b32 exec_lo, exec_lo, s10
	s_and_saveexec_b32 s9, s6
	s_cbranch_execnz .LBB53_61
.LBB53_45:                              ;   in Loop: Header=BB53_3 Depth=1
	s_or_b32 exec_lo, exec_lo, s9
	s_and_saveexec_b32 s8, s5
	s_cbranch_execnz .LBB53_62
.LBB53_46:                              ;   in Loop: Header=BB53_3 Depth=1
	s_or_b32 exec_lo, exec_lo, s8
	s_and_saveexec_b32 s7, s4
	s_cbranch_execnz .LBB53_63
.LBB53_47:                              ;   in Loop: Header=BB53_3 Depth=1
	s_or_b32 exec_lo, exec_lo, s7
	s_and_saveexec_b32 s6, s3
	s_cbranch_execnz .LBB53_64
.LBB53_48:                              ;   in Loop: Header=BB53_3 Depth=1
	s_or_b32 exec_lo, exec_lo, s6
	s_and_saveexec_b32 s5, s2
	s_cbranch_execnz .LBB53_65
.LBB53_49:                              ;   in Loop: Header=BB53_3 Depth=1
	s_or_b32 exec_lo, exec_lo, s5
	s_and_saveexec_b32 s4, vcc_lo
	s_cbranch_execz .LBB53_2
	s_branch .LBB53_66
.LBB53_50:                              ;   in Loop: Header=BB53_3 Depth=1
	s_wait_loadcnt 0x0
	global_load_b64 v[32:33], v37, s[36:37] scale_offset
	s_wait_xcnt 0x0
	s_or_b32 exec_lo, exec_lo, s17
	s_and_saveexec_b32 s55, s16
	s_cbranch_execz .LBB53_35
.LBB53_51:                              ;   in Loop: Header=BB53_3 Depth=1
	s_wait_loadcnt 0x0
	v_cmp_u_f64_e64 s18, v[2:3], v[2:3]
	s_wait_kmcnt 0x0
	v_cmp_eq_f64_e64 s16, s[34:35], v[2:3]
	v_cmp_gt_i32_e64 s17, s24, v1
	s_delay_alu instid0(VALU_DEP_3) | instskip(SKIP_2) | instid1(SALU_CYCLE_1)
	v_add_co_ci_u32_e64 v34, null, 0, v34, s18
	v_cmp_gt_f64_e64 s18, s[34:35], v[2:3]
	s_and_b32 s16, s16, s17
	v_add_co_ci_u32_e64 v36, null, 0, v36, s16
	v_add_co_ci_u32_e64 v35, null, 0, v35, s18
	s_or_b32 exec_lo, exec_lo, s55
	s_and_saveexec_b32 s18, s15
	s_cbranch_execz .LBB53_36
.LBB53_52:                              ;   in Loop: Header=BB53_3 Depth=1
	s_wait_loadcnt 0x0
	v_cmp_u_f64_e64 s17, v[4:5], v[4:5]
	s_wait_kmcnt 0x0
	v_cmp_eq_f64_e64 s15, s[34:35], v[4:5]
	v_cmp_gt_i32_e64 s16, s24, v51
	s_delay_alu instid0(VALU_DEP_3) | instskip(SKIP_2) | instid1(SALU_CYCLE_1)
	v_add_co_ci_u32_e64 v34, null, 0, v34, s17
	v_cmp_gt_f64_e64 s17, s[34:35], v[4:5]
	s_and_b32 s15, s15, s16
	v_add_co_ci_u32_e64 v36, null, 0, v36, s15
	v_add_co_ci_u32_e64 v35, null, 0, v35, s17
	s_or_b32 exec_lo, exec_lo, s18
	s_and_saveexec_b32 s17, s14
	s_cbranch_execz .LBB53_37
.LBB53_53:                              ;   in Loop: Header=BB53_3 Depth=1
	s_wait_loadcnt 0x0
	v_cmp_u_f64_e64 s16, v[6:7], v[6:7]
	s_wait_kmcnt 0x0
	v_cmp_eq_f64_e64 s14, s[34:35], v[6:7]
	v_cmp_gt_i32_e64 s15, s24, v50
	s_delay_alu instid0(VALU_DEP_3) | instskip(SKIP_2) | instid1(SALU_CYCLE_1)
	v_add_co_ci_u32_e64 v34, null, 0, v34, s16
	v_cmp_gt_f64_e64 s16, s[34:35], v[6:7]
	s_and_b32 s14, s14, s15
	v_add_co_ci_u32_e64 v36, null, 0, v36, s14
	v_add_co_ci_u32_e64 v35, null, 0, v35, s16
	s_or_b32 exec_lo, exec_lo, s17
	s_and_saveexec_b32 s16, s13
	s_cbranch_execz .LBB53_38
.LBB53_54:                              ;   in Loop: Header=BB53_3 Depth=1
	s_wait_loadcnt 0x0
	v_cmp_u_f64_e64 s15, v[8:9], v[8:9]
	s_wait_kmcnt 0x0
	v_cmp_eq_f64_e64 s13, s[34:35], v[8:9]
	v_cmp_gt_i32_e64 s14, s24, v49
	s_delay_alu instid0(VALU_DEP_3) | instskip(SKIP_2) | instid1(SALU_CYCLE_1)
	v_add_co_ci_u32_e64 v34, null, 0, v34, s15
	v_cmp_gt_f64_e64 s15, s[34:35], v[8:9]
	s_and_b32 s13, s13, s14
	v_add_co_ci_u32_e64 v36, null, 0, v36, s13
	v_add_co_ci_u32_e64 v35, null, 0, v35, s15
	s_or_b32 exec_lo, exec_lo, s16
	s_and_saveexec_b32 s15, s12
	s_cbranch_execz .LBB53_39
.LBB53_55:                              ;   in Loop: Header=BB53_3 Depth=1
	s_wait_loadcnt 0x0
	v_cmp_u_f64_e64 s14, v[10:11], v[10:11]
	s_wait_kmcnt 0x0
	v_cmp_eq_f64_e64 s12, s[34:35], v[10:11]
	v_cmp_gt_i32_e64 s13, s24, v48
	s_delay_alu instid0(VALU_DEP_3) | instskip(SKIP_2) | instid1(SALU_CYCLE_1)
	v_add_co_ci_u32_e64 v34, null, 0, v34, s14
	v_cmp_gt_f64_e64 s14, s[34:35], v[10:11]
	s_and_b32 s12, s12, s13
	v_add_co_ci_u32_e64 v36, null, 0, v36, s12
	v_add_co_ci_u32_e64 v35, null, 0, v35, s14
	s_or_b32 exec_lo, exec_lo, s15
	s_and_saveexec_b32 s14, s11
	s_cbranch_execz .LBB53_40
.LBB53_56:                              ;   in Loop: Header=BB53_3 Depth=1
	s_wait_loadcnt 0x0
	v_cmp_u_f64_e64 s13, v[12:13], v[12:13]
	s_wait_kmcnt 0x0
	v_cmp_eq_f64_e64 s11, s[34:35], v[12:13]
	v_cmp_gt_i32_e64 s12, s24, v47
	s_delay_alu instid0(VALU_DEP_3) | instskip(SKIP_2) | instid1(SALU_CYCLE_1)
	v_add_co_ci_u32_e64 v34, null, 0, v34, s13
	v_cmp_gt_f64_e64 s13, s[34:35], v[12:13]
	s_and_b32 s11, s11, s12
	v_add_co_ci_u32_e64 v36, null, 0, v36, s11
	v_add_co_ci_u32_e64 v35, null, 0, v35, s13
	s_or_b32 exec_lo, exec_lo, s14
	s_and_saveexec_b32 s13, s10
	s_cbranch_execz .LBB53_41
.LBB53_57:                              ;   in Loop: Header=BB53_3 Depth=1
	s_wait_loadcnt 0x0
	v_cmp_u_f64_e64 s12, v[14:15], v[14:15]
	s_wait_kmcnt 0x0
	v_cmp_eq_f64_e64 s10, s[34:35], v[14:15]
	v_cmp_gt_i32_e64 s11, s24, v46
	s_delay_alu instid0(VALU_DEP_3) | instskip(SKIP_2) | instid1(SALU_CYCLE_1)
	v_add_co_ci_u32_e64 v34, null, 0, v34, s12
	v_cmp_gt_f64_e64 s12, s[34:35], v[14:15]
	s_and_b32 s10, s10, s11
	v_add_co_ci_u32_e64 v36, null, 0, v36, s10
	v_add_co_ci_u32_e64 v35, null, 0, v35, s12
	s_or_b32 exec_lo, exec_lo, s13
	s_and_saveexec_b32 s12, s9
	s_cbranch_execz .LBB53_42
.LBB53_58:                              ;   in Loop: Header=BB53_3 Depth=1
	s_wait_loadcnt 0x0
	v_cmp_u_f64_e64 s11, v[16:17], v[16:17]
	s_wait_kmcnt 0x0
	v_cmp_eq_f64_e64 s9, s[34:35], v[16:17]
	v_cmp_gt_i32_e64 s10, s24, v45
	s_delay_alu instid0(VALU_DEP_3) | instskip(SKIP_2) | instid1(SALU_CYCLE_1)
	v_add_co_ci_u32_e64 v34, null, 0, v34, s11
	v_cmp_gt_f64_e64 s11, s[34:35], v[16:17]
	s_and_b32 s9, s9, s10
	v_add_co_ci_u32_e64 v36, null, 0, v36, s9
	v_add_co_ci_u32_e64 v35, null, 0, v35, s11
	s_or_b32 exec_lo, exec_lo, s12
	s_and_saveexec_b32 s11, s8
	s_cbranch_execz .LBB53_43
.LBB53_59:                              ;   in Loop: Header=BB53_3 Depth=1
	s_wait_loadcnt 0x0
	v_cmp_u_f64_e64 s10, v[18:19], v[18:19]
	s_wait_kmcnt 0x0
	v_cmp_eq_f64_e64 s8, s[34:35], v[18:19]
	v_cmp_gt_i32_e64 s9, s24, v44
	s_delay_alu instid0(VALU_DEP_3) | instskip(SKIP_2) | instid1(SALU_CYCLE_1)
	v_add_co_ci_u32_e64 v34, null, 0, v34, s10
	v_cmp_gt_f64_e64 s10, s[34:35], v[18:19]
	s_and_b32 s8, s8, s9
	v_add_co_ci_u32_e64 v36, null, 0, v36, s8
	v_add_co_ci_u32_e64 v35, null, 0, v35, s10
	s_or_b32 exec_lo, exec_lo, s11
	s_and_saveexec_b32 s10, s7
	s_cbranch_execz .LBB53_44
.LBB53_60:                              ;   in Loop: Header=BB53_3 Depth=1
	s_wait_loadcnt 0x0
	v_cmp_u_f64_e64 s9, v[20:21], v[20:21]
	s_wait_kmcnt 0x0
	v_cmp_eq_f64_e64 s7, s[34:35], v[20:21]
	v_cmp_gt_i32_e64 s8, s24, v43
	s_delay_alu instid0(VALU_DEP_3) | instskip(SKIP_2) | instid1(SALU_CYCLE_1)
	v_add_co_ci_u32_e64 v34, null, 0, v34, s9
	v_cmp_gt_f64_e64 s9, s[34:35], v[20:21]
	s_and_b32 s7, s7, s8
	v_add_co_ci_u32_e64 v36, null, 0, v36, s7
	v_add_co_ci_u32_e64 v35, null, 0, v35, s9
	s_or_b32 exec_lo, exec_lo, s10
	s_and_saveexec_b32 s9, s6
	s_cbranch_execz .LBB53_45
.LBB53_61:                              ;   in Loop: Header=BB53_3 Depth=1
	s_wait_loadcnt 0x0
	v_cmp_u_f64_e64 s8, v[22:23], v[22:23]
	s_wait_kmcnt 0x0
	v_cmp_eq_f64_e64 s6, s[34:35], v[22:23]
	v_cmp_gt_i32_e64 s7, s24, v42
	s_delay_alu instid0(VALU_DEP_3) | instskip(SKIP_2) | instid1(SALU_CYCLE_1)
	v_add_co_ci_u32_e64 v34, null, 0, v34, s8
	v_cmp_gt_f64_e64 s8, s[34:35], v[22:23]
	s_and_b32 s6, s6, s7
	v_add_co_ci_u32_e64 v36, null, 0, v36, s6
	v_add_co_ci_u32_e64 v35, null, 0, v35, s8
	s_or_b32 exec_lo, exec_lo, s9
	s_and_saveexec_b32 s8, s5
	s_cbranch_execz .LBB53_46
.LBB53_62:                              ;   in Loop: Header=BB53_3 Depth=1
	s_wait_loadcnt 0x0
	v_cmp_u_f64_e64 s7, v[24:25], v[24:25]
	s_wait_kmcnt 0x0
	v_cmp_eq_f64_e64 s5, s[34:35], v[24:25]
	v_cmp_gt_i32_e64 s6, s24, v41
	s_delay_alu instid0(VALU_DEP_3) | instskip(SKIP_2) | instid1(SALU_CYCLE_1)
	v_add_co_ci_u32_e64 v34, null, 0, v34, s7
	v_cmp_gt_f64_e64 s7, s[34:35], v[24:25]
	s_and_b32 s5, s5, s6
	v_add_co_ci_u32_e64 v36, null, 0, v36, s5
	v_add_co_ci_u32_e64 v35, null, 0, v35, s7
	s_or_b32 exec_lo, exec_lo, s8
	s_and_saveexec_b32 s7, s4
	s_cbranch_execz .LBB53_47
.LBB53_63:                              ;   in Loop: Header=BB53_3 Depth=1
	s_wait_loadcnt 0x0
	v_cmp_u_f64_e64 s6, v[26:27], v[26:27]
	s_wait_kmcnt 0x0
	v_cmp_eq_f64_e64 s4, s[34:35], v[26:27]
	v_cmp_gt_i32_e64 s5, s24, v40
	s_delay_alu instid0(VALU_DEP_3) | instskip(SKIP_2) | instid1(SALU_CYCLE_1)
	v_add_co_ci_u32_e64 v34, null, 0, v34, s6
	v_cmp_gt_f64_e64 s6, s[34:35], v[26:27]
	s_and_b32 s4, s4, s5
	v_add_co_ci_u32_e64 v36, null, 0, v36, s4
	v_add_co_ci_u32_e64 v35, null, 0, v35, s6
	s_or_b32 exec_lo, exec_lo, s7
	s_and_saveexec_b32 s6, s3
	s_cbranch_execz .LBB53_48
.LBB53_64:                              ;   in Loop: Header=BB53_3 Depth=1
	s_wait_loadcnt 0x0
	v_cmp_u_f64_e64 s5, v[28:29], v[28:29]
	s_wait_kmcnt 0x0
	v_cmp_eq_f64_e64 s3, s[34:35], v[28:29]
	v_cmp_gt_i32_e64 s4, s24, v39
	s_delay_alu instid0(VALU_DEP_3) | instskip(SKIP_2) | instid1(SALU_CYCLE_1)
	v_add_co_ci_u32_e64 v34, null, 0, v34, s5
	v_cmp_gt_f64_e64 s5, s[34:35], v[28:29]
	s_and_b32 s3, s3, s4
	v_add_co_ci_u32_e64 v36, null, 0, v36, s3
	v_add_co_ci_u32_e64 v35, null, 0, v35, s5
	s_or_b32 exec_lo, exec_lo, s6
	s_and_saveexec_b32 s5, s2
	s_cbranch_execz .LBB53_49
.LBB53_65:                              ;   in Loop: Header=BB53_3 Depth=1
	s_wait_loadcnt 0x0
	v_cmp_u_f64_e64 s4, v[30:31], v[30:31]
	s_wait_kmcnt 0x0
	v_cmp_eq_f64_e64 s2, s[34:35], v[30:31]
	v_cmp_gt_i32_e64 s3, s24, v38
	s_delay_alu instid0(VALU_DEP_3) | instskip(SKIP_2) | instid1(SALU_CYCLE_1)
	v_add_co_ci_u32_e64 v34, null, 0, v34, s4
	v_cmp_gt_f64_e64 s4, s[34:35], v[30:31]
	s_and_b32 s2, s2, s3
	v_add_co_ci_u32_e64 v36, null, 0, v36, s2
	v_add_co_ci_u32_e64 v35, null, 0, v35, s4
	s_or_b32 exec_lo, exec_lo, s5
	s_and_saveexec_b32 s4, vcc_lo
	s_cbranch_execz .LBB53_2
.LBB53_66:                              ;   in Loop: Header=BB53_3 Depth=1
	s_wait_loadcnt 0x0
	v_cmp_u_f64_e64 s3, v[32:33], v[32:33]
	s_wait_kmcnt 0x0
	v_cmp_eq_f64_e32 vcc_lo, s[34:35], v[32:33]
	v_cmp_gt_i32_e64 s2, s24, v37
	s_delay_alu instid0(VALU_DEP_3) | instskip(SKIP_2) | instid1(SALU_CYCLE_1)
	v_add_co_ci_u32_e64 v34, null, 0, v34, s3
	v_cmp_gt_f64_e64 s3, s[34:35], v[32:33]
	s_and_b32 vcc_lo, vcc_lo, s2
	v_add_co_ci_u32_e64 v36, null, 0, v36, vcc_lo
	v_add_co_ci_u32_e64 v35, null, 0, v35, s3
	s_branch .LBB53_2
.LBB53_67:
	v_mov_b32_e32 v36, 0
	s_delay_alu instid0(VALU_DEP_1)
	v_dual_mov_b32 v37, v36 :: v_dual_mov_b32 v38, v36
	v_dual_mov_b32 v39, v36 :: v_dual_mov_b32 v40, v36
	v_dual_mov_b32 v41, v36 :: v_dual_mov_b32 v42, v36
	v_dual_mov_b32 v43, v36 :: v_dual_mov_b32 v44, v36
	v_dual_mov_b32 v45, v36 :: v_dual_mov_b32 v46, v36
	v_dual_mov_b32 v47, v36 :: v_dual_mov_b32 v48, v36
	v_dual_mov_b32 v49, v36 :: v_dual_mov_b32 v50, v36
	v_dual_mov_b32 v51, v36 :: v_dual_mov_b32 v52, v36
	v_dual_mov_b32 v53, v36 :: v_dual_mov_b32 v54, v36
	v_dual_mov_b32 v55, v36 :: v_dual_mov_b32 v56, v36
	v_dual_mov_b32 v57, v36 :: v_dual_mov_b32 v58, v36
	v_dual_mov_b32 v59, v36 :: v_dual_mov_b32 v60, v36
	v_dual_mov_b32 v61, v36 :: v_dual_mov_b32 v62, v36
	v_dual_mov_b32 v63, v36 :: v_dual_mov_b32 v64, v36
	v_dual_mov_b32 v65, v36 :: v_dual_mov_b32 v66, v36
	v_mov_b32_e32 v67, v36
	v_mov_b64_e32 v[2:3], v[36:37]
	v_mov_b64_e32 v[4:5], v[38:39]
	;; [unrolled: 1-line block ×16, first 2 shown]
	v_lshlrev_b32_e32 v1, 2, v0
	s_cmp_lt_u32 s33, 2
	ds_store_b32 v1, v36
	s_cbranch_scc0 .LBB53_69
	s_branch .LBB53_73
.LBB53_68:
	v_add_nc_u32_e32 v36, v35, v36
	v_cmp_eq_u32_e64 s2, 0, v34
	v_lshlrev_b32_e32 v1, 2, v0
	s_cmp_lt_u32 s33, 2
	ds_store_b32 v1, v36
	s_cbranch_scc1 .LBB53_73
.LBB53_69:
	s_mov_b32 s3, s33
	s_branch .LBB53_71
.LBB53_70:                              ;   in Loop: Header=BB53_71 Depth=1
	s_or_b32 exec_lo, exec_lo, s5
	s_cmp_lt_u32 s3, 4
	s_mov_b32 s3, s4
	s_cbranch_scc1 .LBB53_73
.LBB53_71:                              ; =>This Inner Loop Header: Depth=1
	s_lshr_b32 s4, s3, 1
	s_mov_b32 s5, exec_lo
	s_wait_loadcnt_dscnt 0x0
	s_barrier_signal -1
	s_barrier_wait -1
	v_cmpx_gt_u32_e64 s4, v0
	s_cbranch_execz .LBB53_70
; %bb.72:                               ;   in Loop: Header=BB53_71 Depth=1
	v_lshl_add_u32 v34, s4, 2, v1
	ds_load_b32 v34, v34
	s_wait_dscnt 0x0
	v_add_nc_u32_e32 v36, v34, v36
	ds_store_b32 v1, v36
	s_branch .LBB53_70
.LBB53_73:
	v_mov_b32_e32 v1, 0
	s_wait_loadcnt_dscnt 0x0
	s_barrier_signal -1
	s_barrier_wait -1
	ds_load_b32 v1, v1
	s_mul_u64 s[4:5], s[22:23], s[26:27]
	s_delay_alu instid0(SALU_CYCLE_1)
	s_lshl_b64 s[6:7], s[4:5], 3
	s_xor_b32 s5, s2, -1
	s_add_nc_u64 s[2:3], s[20:21], s[6:7]
	s_mov_b32 s4, exec_lo
	v_cmpx_eq_u32_e32 0, v0
	s_cbranch_execnz .LBB53_76
; %bb.74:
	s_or_b32 exec_lo, exec_lo, s4
	s_and_saveexec_b32 s4, s5
	s_cbranch_execnz .LBB53_77
.LBB53_75:
	s_or_b32 exec_lo, exec_lo, s4
	s_delay_alu instid0(SALU_CYCLE_1)
	s_and_not1_b32 vcc_lo, exec_lo, s50
	s_cbranch_vccz .LBB53_78
	s_branch .LBB53_144
.LBB53_76:
	s_wait_kmcnt 0x0
	v_mov_b64_e32 v[34:35], s[34:35]
	s_wait_dscnt 0x0
	global_store_b64 v1, v[34:35], s[2:3] scale_offset
	s_wait_xcnt 0x0
	s_or_b32 exec_lo, exec_lo, s4
	s_and_saveexec_b32 s4, s5
	s_cbranch_execz .LBB53_75
.LBB53_77:
	v_mov_b64_e32 v[34:35], 0x7ff8000000000000
	v_mov_b32_e32 v36, 0
	s_add_nc_u64 s[2:3], s[2:3], s[30:31]
	global_store_b64 v36, v[34:35], s[2:3]
	s_wait_xcnt 0x0
	s_or_b32 exec_lo, exec_lo, s4
	s_delay_alu instid0(SALU_CYCLE_1)
	s_and_not1_b32 vcc_lo, exec_lo, s50
	s_cbranch_vccnz .LBB53_144
.LBB53_78:
	s_clause 0x1
	s_load_b256 s[4:11], s[0:1], 0x38
	s_load_b64 s[2:3], s[0:1], 0x30
	s_add_co_i32 s15, s49, 1
	s_lshl_b32 s18, s33, 1
	s_lshl_b32 s20, s33, 2
	;; [unrolled: 1-line block ×3, first 2 shown]
	s_wait_dscnt 0x0
	s_wait_kmcnt 0x0
	v_mul_lo_u32 v34, v1, s9
	s_mul_u64 s[0:1], s[4:5], s[26:27]
	s_ashr_i32 s5, s2, 31
	s_lshl_b64 s[0:1], s[0:1], 3
	s_mov_b32 s4, s2
	s_add_nc_u64 s[0:1], s[28:29], s[0:1]
	s_lshl_b64 s[4:5], s[4:5], 3
	s_mul_u64 s[10:11], s[10:11], s[26:27]
	s_add_nc_u64 s[0:1], s[0:1], s[4:5]
	s_ashr_i32 s5, s8, 31
	s_mov_b32 s4, s8
	v_ashrrev_i32_e32 v35, 31, v34
	s_lshl_b64 s[8:9], s[10:11], 3
	s_lshl_b64 s[4:5], s[4:5], 3
	s_add_nc_u64 s[6:7], s[6:7], s[8:9]
	s_mul_i32 s2, s3, s24
	v_lshlrev_b64_e32 v[34:35], 3, v[34:35]
	s_add_nc_u64 s[4:5], s[6:7], s[4:5]
	s_ashr_i32 s3, s2, 31
	s_delay_alu instid0(SALU_CYCLE_1) | instskip(NEXT) | instid1(SALU_CYCLE_1)
	s_lshl_b64 s[2:3], s[2:3], 3
	s_add_nc_u64 s[16:17], s[0:1], s[2:3]
	s_delay_alu instid0(VALU_DEP_1)
	v_add_nc_u64_e32 v[34:35], s[4:5], v[34:35]
	s_branch .LBB53_80
.LBB53_79:                              ;   in Loop: Header=BB53_80 Depth=1
	s_wait_xcnt 0x0
	s_or_b32 exec_lo, exec_lo, s0
	v_add_nc_u32_e32 v0, s39, v0
	s_add_co_i32 s15, s15, -1
	s_delay_alu instid0(SALU_CYCLE_1)
	s_cmp_eq_u32 s15, 0
	s_cbranch_scc1 .LBB53_144
.LBB53_80:                              ; =>This Inner Loop Header: Depth=1
	s_delay_alu instid0(VALU_DEP_1)
	v_cmp_gt_i32_e32 vcc_lo, s38, v0
	s_and_saveexec_b32 s0, vcc_lo
	s_cbranch_execz .LBB53_82
; %bb.81:                               ;   in Loop: Header=BB53_80 Depth=1
	s_wait_loadcnt 0x0
	global_load_b64 v[2:3], v0, s[16:17] scale_offset
.LBB53_82:                              ;   in Loop: Header=BB53_80 Depth=1
	s_wait_xcnt 0x0
	s_or_b32 exec_lo, exec_lo, s0
	v_add_nc_u32_e32 v1, s33, v0
	s_delay_alu instid0(VALU_DEP_1)
	v_cmp_gt_i32_e64 s0, s38, v1
	s_and_saveexec_b32 s1, s0
	s_cbranch_execz .LBB53_84
; %bb.83:                               ;   in Loop: Header=BB53_80 Depth=1
	s_wait_loadcnt 0x0
	global_load_b64 v[4:5], v1, s[16:17] scale_offset
.LBB53_84:                              ;   in Loop: Header=BB53_80 Depth=1
	s_wait_xcnt 0x0
	s_or_b32 exec_lo, exec_lo, s1
	v_dual_add_nc_u32 v37, s33, v1 :: v_dual_add_nc_u32 v36, s18, v0
	s_delay_alu instid0(VALU_DEP_1)
	v_cmp_gt_i32_e64 s1, s38, v37
	s_and_saveexec_b32 s2, s1
	s_cbranch_execz .LBB53_86
; %bb.85:                               ;   in Loop: Header=BB53_80 Depth=1
	s_wait_loadcnt 0x0
	global_load_b64 v[6:7], v36, s[16:17] scale_offset
.LBB53_86:                              ;   in Loop: Header=BB53_80 Depth=1
	s_wait_xcnt 0x0
	s_or_b32 exec_lo, exec_lo, s2
	v_dual_add_nc_u32 v38, s33, v37 :: v_dual_add_nc_u32 v37, s19, v0
	s_delay_alu instid0(VALU_DEP_1)
	v_cmp_gt_i32_e64 s2, s38, v38
	s_and_saveexec_b32 s3, s2
	s_cbranch_execz .LBB53_88
; %bb.87:                               ;   in Loop: Header=BB53_80 Depth=1
	s_wait_loadcnt 0x0
	global_load_b64 v[8:9], v37, s[16:17] scale_offset
.LBB53_88:                              ;   in Loop: Header=BB53_80 Depth=1
	s_wait_xcnt 0x0
	s_or_b32 exec_lo, exec_lo, s3
	v_dual_add_nc_u32 v39, s33, v38 :: v_dual_add_nc_u32 v38, s20, v0
	s_delay_alu instid0(VALU_DEP_1)
	v_cmp_gt_i32_e64 s3, s38, v39
	s_and_saveexec_b32 s4, s3
	s_cbranch_execz .LBB53_90
; %bb.89:                               ;   in Loop: Header=BB53_80 Depth=1
	s_wait_loadcnt 0x0
	global_load_b64 v[10:11], v38, s[16:17] scale_offset
.LBB53_90:                              ;   in Loop: Header=BB53_80 Depth=1
	s_wait_xcnt 0x0
	s_or_b32 exec_lo, exec_lo, s4
	v_dual_add_nc_u32 v40, s33, v39 :: v_dual_add_nc_u32 v39, s25, v0
	s_delay_alu instid0(VALU_DEP_1)
	v_cmp_gt_i32_e64 s4, s38, v40
	s_and_saveexec_b32 s5, s4
	s_cbranch_execz .LBB53_92
; %bb.91:                               ;   in Loop: Header=BB53_80 Depth=1
	s_wait_loadcnt 0x0
	global_load_b64 v[12:13], v39, s[16:17] scale_offset
.LBB53_92:                              ;   in Loop: Header=BB53_80 Depth=1
	s_wait_xcnt 0x0
	s_or_b32 exec_lo, exec_lo, s5
	v_add_nc_u32_e32 v41, s33, v40
	v_add_nc_u32_e32 v40, s40, v0
	s_delay_alu instid0(VALU_DEP_2)
	v_cmp_gt_i32_e64 s5, s38, v41
	s_and_saveexec_b32 s6, s5
	s_cbranch_execz .LBB53_94
; %bb.93:                               ;   in Loop: Header=BB53_80 Depth=1
	s_wait_loadcnt 0x0
	global_load_b64 v[14:15], v40, s[16:17] scale_offset
.LBB53_94:                              ;   in Loop: Header=BB53_80 Depth=1
	s_wait_xcnt 0x0
	s_or_b32 exec_lo, exec_lo, s6
	v_dual_add_nc_u32 v42, s33, v41 :: v_dual_add_nc_u32 v41, s41, v0
	s_delay_alu instid0(VALU_DEP_1)
	v_cmp_gt_i32_e64 s6, s38, v42
	s_and_saveexec_b32 s7, s6
	s_cbranch_execz .LBB53_96
; %bb.95:                               ;   in Loop: Header=BB53_80 Depth=1
	s_wait_loadcnt 0x0
	global_load_b64 v[16:17], v41, s[16:17] scale_offset
.LBB53_96:                              ;   in Loop: Header=BB53_80 Depth=1
	s_wait_xcnt 0x0
	s_or_b32 exec_lo, exec_lo, s7
	v_dual_add_nc_u32 v43, s33, v42 :: v_dual_add_nc_u32 v42, s21, v0
	s_delay_alu instid0(VALU_DEP_1)
	;; [unrolled: 11-line block ×3, first 2 shown]
	v_cmp_gt_i32_e64 s8, s38, v44
	s_and_saveexec_b32 s9, s8
	s_cbranch_execz .LBB53_100
; %bb.99:                               ;   in Loop: Header=BB53_80 Depth=1
	s_wait_loadcnt 0x0
	global_load_b64 v[20:21], v43, s[16:17] scale_offset
.LBB53_100:                             ;   in Loop: Header=BB53_80 Depth=1
	s_wait_xcnt 0x0
	s_or_b32 exec_lo, exec_lo, s9
	v_add_nc_u32_e32 v45, s33, v44
	v_add_nc_u32_e32 v44, s43, v0
	s_delay_alu instid0(VALU_DEP_2)
	v_cmp_gt_i32_e64 s9, s38, v45
	s_and_saveexec_b32 s10, s9
	s_cbranch_execz .LBB53_102
; %bb.101:                              ;   in Loop: Header=BB53_80 Depth=1
	s_wait_loadcnt 0x0
	global_load_b64 v[22:23], v44, s[16:17] scale_offset
.LBB53_102:                             ;   in Loop: Header=BB53_80 Depth=1
	s_wait_xcnt 0x0
	s_or_b32 exec_lo, exec_lo, s10
	v_dual_add_nc_u32 v46, s33, v45 :: v_dual_add_nc_u32 v45, s44, v0
	s_delay_alu instid0(VALU_DEP_1)
	v_cmp_gt_i32_e64 s10, s38, v46
	s_and_saveexec_b32 s11, s10
	s_cbranch_execz .LBB53_104
; %bb.103:                              ;   in Loop: Header=BB53_80 Depth=1
	s_wait_loadcnt 0x0
	global_load_b64 v[24:25], v45, s[16:17] scale_offset
.LBB53_104:                             ;   in Loop: Header=BB53_80 Depth=1
	s_wait_xcnt 0x0
	s_or_b32 exec_lo, exec_lo, s11
	v_dual_add_nc_u32 v47, s33, v46 :: v_dual_add_nc_u32 v46, s45, v0
	s_delay_alu instid0(VALU_DEP_1)
	;; [unrolled: 11-line block ×3, first 2 shown]
	v_cmp_gt_i32_e64 s12, s38, v48
	s_and_saveexec_b32 s13, s12
	s_cbranch_execz .LBB53_108
; %bb.107:                              ;   in Loop: Header=BB53_80 Depth=1
	s_wait_loadcnt 0x0
	global_load_b64 v[28:29], v47, s[16:17] scale_offset
.LBB53_108:                             ;   in Loop: Header=BB53_80 Depth=1
	s_wait_xcnt 0x0
	s_or_b32 exec_lo, exec_lo, s13
	v_add_nc_u32_e32 v49, s33, v48
	v_add_nc_u32_e32 v48, s47, v0
	s_delay_alu instid0(VALU_DEP_2)
	v_cmp_gt_i32_e64 s13, s38, v49
	s_and_saveexec_b32 s14, s13
	s_cbranch_execz .LBB53_110
; %bb.109:                              ;   in Loop: Header=BB53_80 Depth=1
	s_wait_loadcnt 0x0
	global_load_b64 v[30:31], v48, s[16:17] scale_offset
.LBB53_110:                             ;   in Loop: Header=BB53_80 Depth=1
	s_wait_xcnt 0x0
	s_or_b32 exec_lo, exec_lo, s14
	v_dual_add_nc_u32 v50, s33, v49 :: v_dual_add_nc_u32 v49, s48, v0
	s_delay_alu instid0(VALU_DEP_1)
	v_cmp_gt_i32_e64 s14, s38, v50
	s_and_saveexec_b32 s22, s14
	s_cbranch_execnz .LBB53_127
; %bb.111:                              ;   in Loop: Header=BB53_80 Depth=1
	s_or_b32 exec_lo, exec_lo, s22
	s_and_saveexec_b32 s22, vcc_lo
	s_cbranch_execnz .LBB53_128
.LBB53_112:                             ;   in Loop: Header=BB53_80 Depth=1
	s_or_b32 exec_lo, exec_lo, s22
	s_and_saveexec_b32 s22, s0
	s_cbranch_execnz .LBB53_129
.LBB53_113:                             ;   in Loop: Header=BB53_80 Depth=1
	s_or_b32 exec_lo, exec_lo, s22
	s_and_saveexec_b32 s0, s1
	s_cbranch_execnz .LBB53_130
.LBB53_114:                             ;   in Loop: Header=BB53_80 Depth=1
	s_or_b32 exec_lo, exec_lo, s0
	s_and_saveexec_b32 s0, s2
	s_cbranch_execnz .LBB53_131
.LBB53_115:                             ;   in Loop: Header=BB53_80 Depth=1
	s_or_b32 exec_lo, exec_lo, s0
	s_and_saveexec_b32 s0, s3
	s_cbranch_execnz .LBB53_132
.LBB53_116:                             ;   in Loop: Header=BB53_80 Depth=1
	s_or_b32 exec_lo, exec_lo, s0
	s_and_saveexec_b32 s0, s4
	s_cbranch_execnz .LBB53_133
.LBB53_117:                             ;   in Loop: Header=BB53_80 Depth=1
	s_or_b32 exec_lo, exec_lo, s0
	s_and_saveexec_b32 s0, s5
	s_cbranch_execnz .LBB53_134
.LBB53_118:                             ;   in Loop: Header=BB53_80 Depth=1
	s_or_b32 exec_lo, exec_lo, s0
	s_and_saveexec_b32 s0, s6
	s_cbranch_execnz .LBB53_135
.LBB53_119:                             ;   in Loop: Header=BB53_80 Depth=1
	s_or_b32 exec_lo, exec_lo, s0
	s_and_saveexec_b32 s0, s7
	s_cbranch_execnz .LBB53_136
.LBB53_120:                             ;   in Loop: Header=BB53_80 Depth=1
	s_or_b32 exec_lo, exec_lo, s0
	s_and_saveexec_b32 s0, s8
	s_cbranch_execnz .LBB53_137
.LBB53_121:                             ;   in Loop: Header=BB53_80 Depth=1
	s_or_b32 exec_lo, exec_lo, s0
	s_and_saveexec_b32 s0, s9
	s_cbranch_execnz .LBB53_138
.LBB53_122:                             ;   in Loop: Header=BB53_80 Depth=1
	s_or_b32 exec_lo, exec_lo, s0
	s_and_saveexec_b32 s0, s10
	s_cbranch_execnz .LBB53_139
.LBB53_123:                             ;   in Loop: Header=BB53_80 Depth=1
	s_or_b32 exec_lo, exec_lo, s0
	s_and_saveexec_b32 s0, s11
	s_cbranch_execnz .LBB53_140
.LBB53_124:                             ;   in Loop: Header=BB53_80 Depth=1
	s_or_b32 exec_lo, exec_lo, s0
	s_and_saveexec_b32 s0, s12
	s_cbranch_execnz .LBB53_141
.LBB53_125:                             ;   in Loop: Header=BB53_80 Depth=1
	s_or_b32 exec_lo, exec_lo, s0
	s_and_saveexec_b32 s0, s13
	s_cbranch_execnz .LBB53_142
.LBB53_126:                             ;   in Loop: Header=BB53_80 Depth=1
	s_or_b32 exec_lo, exec_lo, s0
	s_and_saveexec_b32 s0, s14
	s_cbranch_execz .LBB53_79
	s_branch .LBB53_143
.LBB53_127:                             ;   in Loop: Header=BB53_80 Depth=1
	s_wait_loadcnt 0x0
	global_load_b64 v[32:33], v49, s[16:17] scale_offset
	s_wait_xcnt 0x0
	s_or_b32 exec_lo, exec_lo, s22
	s_and_saveexec_b32 s22, vcc_lo
	s_cbranch_execz .LBB53_112
.LBB53_128:                             ;   in Loop: Header=BB53_80 Depth=1
	v_readfirstlane_b32 s26, v34
	v_readfirstlane_b32 s27, v35
	s_wait_loadcnt 0x0
	global_store_b64 v0, v[2:3], s[26:27] scale_offset
	s_wait_xcnt 0x0
	s_or_b32 exec_lo, exec_lo, s22
	s_and_saveexec_b32 s22, s0
	s_cbranch_execz .LBB53_113
.LBB53_129:                             ;   in Loop: Header=BB53_80 Depth=1
	v_readfirstlane_b32 s26, v34
	v_readfirstlane_b32 s27, v35
	s_wait_loadcnt 0x0
	global_store_b64 v1, v[4:5], s[26:27] scale_offset
	s_wait_xcnt 0x0
	s_or_b32 exec_lo, exec_lo, s22
	s_and_saveexec_b32 s0, s1
	s_cbranch_execz .LBB53_114
.LBB53_130:                             ;   in Loop: Header=BB53_80 Depth=1
	v_readfirstlane_b32 s22, v34
	v_readfirstlane_b32 s23, v35
	s_wait_loadcnt 0x0
	global_store_b64 v36, v[6:7], s[22:23] scale_offset
	s_wait_xcnt 0x0
	s_or_b32 exec_lo, exec_lo, s0
	s_and_saveexec_b32 s0, s2
	s_cbranch_execz .LBB53_115
.LBB53_131:                             ;   in Loop: Header=BB53_80 Depth=1
	v_readfirstlane_b32 s22, v34
	v_readfirstlane_b32 s23, v35
	s_wait_loadcnt 0x0
	global_store_b64 v37, v[8:9], s[22:23] scale_offset
	s_wait_xcnt 0x0
	s_or_b32 exec_lo, exec_lo, s0
	s_and_saveexec_b32 s0, s3
	s_cbranch_execz .LBB53_116
.LBB53_132:                             ;   in Loop: Header=BB53_80 Depth=1
	v_readfirstlane_b32 s2, v34
	v_readfirstlane_b32 s3, v35
	s_wait_loadcnt 0x0
	global_store_b64 v38, v[10:11], s[2:3] scale_offset
	s_wait_xcnt 0x0
	s_or_b32 exec_lo, exec_lo, s0
	s_and_saveexec_b32 s0, s4
	s_cbranch_execz .LBB53_117
.LBB53_133:                             ;   in Loop: Header=BB53_80 Depth=1
	v_readfirstlane_b32 s2, v34
	v_readfirstlane_b32 s3, v35
	s_wait_loadcnt 0x0
	global_store_b64 v39, v[12:13], s[2:3] scale_offset
	s_wait_xcnt 0x0
	s_or_b32 exec_lo, exec_lo, s0
	s_and_saveexec_b32 s0, s5
	s_cbranch_execz .LBB53_118
.LBB53_134:                             ;   in Loop: Header=BB53_80 Depth=1
	v_readfirstlane_b32 s2, v34
	v_readfirstlane_b32 s3, v35
	s_wait_loadcnt 0x0
	global_store_b64 v40, v[14:15], s[2:3] scale_offset
	s_wait_xcnt 0x0
	s_or_b32 exec_lo, exec_lo, s0
	s_and_saveexec_b32 s0, s6
	s_cbranch_execz .LBB53_119
.LBB53_135:                             ;   in Loop: Header=BB53_80 Depth=1
	v_readfirstlane_b32 s2, v34
	v_readfirstlane_b32 s3, v35
	s_wait_loadcnt 0x0
	global_store_b64 v41, v[16:17], s[2:3] scale_offset
	s_wait_xcnt 0x0
	s_or_b32 exec_lo, exec_lo, s0
	s_and_saveexec_b32 s0, s7
	s_cbranch_execz .LBB53_120
.LBB53_136:                             ;   in Loop: Header=BB53_80 Depth=1
	v_readfirstlane_b32 s2, v34
	v_readfirstlane_b32 s3, v35
	s_wait_loadcnt 0x0
	global_store_b64 v42, v[18:19], s[2:3] scale_offset
	s_wait_xcnt 0x0
	s_or_b32 exec_lo, exec_lo, s0
	s_and_saveexec_b32 s0, s8
	s_cbranch_execz .LBB53_121
.LBB53_137:                             ;   in Loop: Header=BB53_80 Depth=1
	v_readfirstlane_b32 s2, v34
	v_readfirstlane_b32 s3, v35
	s_wait_loadcnt 0x0
	global_store_b64 v43, v[20:21], s[2:3] scale_offset
	s_wait_xcnt 0x0
	s_or_b32 exec_lo, exec_lo, s0
	s_and_saveexec_b32 s0, s9
	s_cbranch_execz .LBB53_122
.LBB53_138:                             ;   in Loop: Header=BB53_80 Depth=1
	v_readfirstlane_b32 s2, v34
	v_readfirstlane_b32 s3, v35
	s_wait_loadcnt 0x0
	global_store_b64 v44, v[22:23], s[2:3] scale_offset
	s_wait_xcnt 0x0
	s_or_b32 exec_lo, exec_lo, s0
	s_and_saveexec_b32 s0, s10
	s_cbranch_execz .LBB53_123
.LBB53_139:                             ;   in Loop: Header=BB53_80 Depth=1
	v_readfirstlane_b32 s2, v34
	v_readfirstlane_b32 s3, v35
	s_wait_loadcnt 0x0
	global_store_b64 v45, v[24:25], s[2:3] scale_offset
	s_wait_xcnt 0x0
	s_or_b32 exec_lo, exec_lo, s0
	s_and_saveexec_b32 s0, s11
	s_cbranch_execz .LBB53_124
.LBB53_140:                             ;   in Loop: Header=BB53_80 Depth=1
	v_readfirstlane_b32 s2, v34
	v_readfirstlane_b32 s3, v35
	s_wait_loadcnt 0x0
	global_store_b64 v46, v[26:27], s[2:3] scale_offset
	s_wait_xcnt 0x0
	s_or_b32 exec_lo, exec_lo, s0
	s_and_saveexec_b32 s0, s12
	s_cbranch_execz .LBB53_125
.LBB53_141:                             ;   in Loop: Header=BB53_80 Depth=1
	v_readfirstlane_b32 s2, v34
	v_readfirstlane_b32 s3, v35
	s_wait_loadcnt 0x0
	global_store_b64 v47, v[28:29], s[2:3] scale_offset
	s_wait_xcnt 0x0
	s_or_b32 exec_lo, exec_lo, s0
	s_and_saveexec_b32 s0, s13
	s_cbranch_execz .LBB53_126
.LBB53_142:                             ;   in Loop: Header=BB53_80 Depth=1
	v_readfirstlane_b32 s2, v34
	v_readfirstlane_b32 s3, v35
	s_wait_loadcnt 0x0
	global_store_b64 v48, v[30:31], s[2:3] scale_offset
	s_wait_xcnt 0x0
	s_or_b32 exec_lo, exec_lo, s0
	s_and_saveexec_b32 s0, s14
	s_cbranch_execz .LBB53_79
.LBB53_143:                             ;   in Loop: Header=BB53_80 Depth=1
	v_readfirstlane_b32 s2, v34
	v_readfirstlane_b32 s3, v35
	s_wait_loadcnt 0x0
	global_store_b64 v49, v[32:33], s[2:3] scale_offset
	s_branch .LBB53_79
.LBB53_144:
	s_sendmsg sendmsg(MSG_DEALLOC_VGPRS)
	s_endpgm
	.section	.rodata,"a",@progbits
	.p2align	6, 0x0
	.amdhsa_kernel _ZN9rocsolver6v33100L10stedc_sortIddPdS2_EEviPT0_lS4_lT1_iilT2_iil
		.amdhsa_group_segment_fixed_size 2048
		.amdhsa_private_segment_fixed_size 0
		.amdhsa_kernarg_size 344
		.amdhsa_user_sgpr_count 2
		.amdhsa_user_sgpr_dispatch_ptr 0
		.amdhsa_user_sgpr_queue_ptr 0
		.amdhsa_user_sgpr_kernarg_segment_ptr 1
		.amdhsa_user_sgpr_dispatch_id 0
		.amdhsa_user_sgpr_kernarg_preload_length 0
		.amdhsa_user_sgpr_kernarg_preload_offset 0
		.amdhsa_user_sgpr_private_segment_size 0
		.amdhsa_wavefront_size32 1
		.amdhsa_uses_dynamic_stack 0
		.amdhsa_enable_private_segment 0
		.amdhsa_system_sgpr_workgroup_id_x 1
		.amdhsa_system_sgpr_workgroup_id_y 1
		.amdhsa_system_sgpr_workgroup_id_z 0
		.amdhsa_system_sgpr_workgroup_info 0
		.amdhsa_system_vgpr_workitem_id 0
		.amdhsa_next_free_vgpr 68
		.amdhsa_next_free_sgpr 56
		.amdhsa_named_barrier_count 0
		.amdhsa_reserve_vcc 1
		.amdhsa_float_round_mode_32 0
		.amdhsa_float_round_mode_16_64 0
		.amdhsa_float_denorm_mode_32 3
		.amdhsa_float_denorm_mode_16_64 3
		.amdhsa_fp16_overflow 0
		.amdhsa_memory_ordered 1
		.amdhsa_forward_progress 1
		.amdhsa_inst_pref_size 42
		.amdhsa_round_robin_scheduling 0
		.amdhsa_exception_fp_ieee_invalid_op 0
		.amdhsa_exception_fp_denorm_src 0
		.amdhsa_exception_fp_ieee_div_zero 0
		.amdhsa_exception_fp_ieee_overflow 0
		.amdhsa_exception_fp_ieee_underflow 0
		.amdhsa_exception_fp_ieee_inexact 0
		.amdhsa_exception_int_div_zero 0
	.end_amdhsa_kernel
	.section	.text._ZN9rocsolver6v33100L10stedc_sortIddPdS2_EEviPT0_lS4_lT1_iilT2_iil,"axG",@progbits,_ZN9rocsolver6v33100L10stedc_sortIddPdS2_EEviPT0_lS4_lT1_iilT2_iil,comdat
.Lfunc_end53:
	.size	_ZN9rocsolver6v33100L10stedc_sortIddPdS2_EEviPT0_lS4_lT1_iilT2_iil, .Lfunc_end53-_ZN9rocsolver6v33100L10stedc_sortIddPdS2_EEviPT0_lS4_lT1_iilT2_iil
                                        ; -- End function
	.set _ZN9rocsolver6v33100L10stedc_sortIddPdS2_EEviPT0_lS4_lT1_iilT2_iil.num_vgpr, 68
	.set _ZN9rocsolver6v33100L10stedc_sortIddPdS2_EEviPT0_lS4_lT1_iilT2_iil.num_agpr, 0
	.set _ZN9rocsolver6v33100L10stedc_sortIddPdS2_EEviPT0_lS4_lT1_iilT2_iil.numbered_sgpr, 56
	.set _ZN9rocsolver6v33100L10stedc_sortIddPdS2_EEviPT0_lS4_lT1_iilT2_iil.num_named_barrier, 0
	.set _ZN9rocsolver6v33100L10stedc_sortIddPdS2_EEviPT0_lS4_lT1_iilT2_iil.private_seg_size, 0
	.set _ZN9rocsolver6v33100L10stedc_sortIddPdS2_EEviPT0_lS4_lT1_iilT2_iil.uses_vcc, 1
	.set _ZN9rocsolver6v33100L10stedc_sortIddPdS2_EEviPT0_lS4_lT1_iilT2_iil.uses_flat_scratch, 0
	.set _ZN9rocsolver6v33100L10stedc_sortIddPdS2_EEviPT0_lS4_lT1_iilT2_iil.has_dyn_sized_stack, 0
	.set _ZN9rocsolver6v33100L10stedc_sortIddPdS2_EEviPT0_lS4_lT1_iilT2_iil.has_recursion, 0
	.set _ZN9rocsolver6v33100L10stedc_sortIddPdS2_EEviPT0_lS4_lT1_iilT2_iil.has_indirect_call, 0
	.section	.AMDGPU.csdata,"",@progbits
; Kernel info:
; codeLenInByte = 5288
; TotalNumSgprs: 58
; NumVgprs: 68
; ScratchSize: 0
; MemoryBound: 0
; FloatMode: 240
; IeeeMode: 1
; LDSByteSize: 2048 bytes/workgroup (compile time only)
; SGPRBlocks: 0
; VGPRBlocks: 4
; NumSGPRsForWavesPerEU: 58
; NumVGPRsForWavesPerEU: 68
; NamedBarCnt: 0
; Occupancy: 12
; WaveLimiterHint : 0
; COMPUTE_PGM_RSRC2:SCRATCH_EN: 0
; COMPUTE_PGM_RSRC2:USER_SGPR: 2
; COMPUTE_PGM_RSRC2:TRAP_HANDLER: 0
; COMPUTE_PGM_RSRC2:TGID_X_EN: 1
; COMPUTE_PGM_RSRC2:TGID_Y_EN: 1
; COMPUTE_PGM_RSRC2:TGID_Z_EN: 0
; COMPUTE_PGM_RSRC2:TIDIG_COMP_CNT: 0
	.section	.text._ZN9rocsolver6v33100L16reset_batch_infoI19rocblas_complex_numIfEiiPS3_EEvT2_lT0_T1_,"axG",@progbits,_ZN9rocsolver6v33100L16reset_batch_infoI19rocblas_complex_numIfEiiPS3_EEvT2_lT0_T1_,comdat
	.globl	_ZN9rocsolver6v33100L16reset_batch_infoI19rocblas_complex_numIfEiiPS3_EEvT2_lT0_T1_ ; -- Begin function _ZN9rocsolver6v33100L16reset_batch_infoI19rocblas_complex_numIfEiiPS3_EEvT2_lT0_T1_
	.p2align	8
	.type	_ZN9rocsolver6v33100L16reset_batch_infoI19rocblas_complex_numIfEiiPS3_EEvT2_lT0_T1_,@function
_ZN9rocsolver6v33100L16reset_batch_infoI19rocblas_complex_numIfEiiPS3_EEvT2_lT0_T1_: ; @_ZN9rocsolver6v33100L16reset_batch_infoI19rocblas_complex_numIfEiiPS3_EEvT2_lT0_T1_
; %bb.0:
	s_clause 0x1
	s_load_b32 s5, s[0:1], 0x24
	s_load_b64 s[2:3], s[0:1], 0x10
	s_bfe_u32 s4, ttmp6, 0x4000c
	s_and_b32 s6, ttmp6, 15
	s_add_co_i32 s7, s4, 1
	s_getreg_b32 s4, hwreg(HW_REG_IB_STS2, 6, 4)
	s_mul_i32 s7, ttmp9, s7
	s_delay_alu instid0(SALU_CYCLE_1) | instskip(SKIP_4) | instid1(SALU_CYCLE_1)
	s_add_co_i32 s6, s6, s7
	s_wait_kmcnt 0x0
	s_and_b32 s5, s5, 0xffff
	s_cmp_eq_u32 s4, 0
	s_cselect_b32 s6, ttmp9, s6
	v_mad_u32 v0, s6, s5, v0
	s_delay_alu instid0(VALU_DEP_1)
	v_cmp_gt_i32_e32 vcc_lo, s2, v0
	s_and_saveexec_b32 s2, vcc_lo
	s_cbranch_execz .LBB54_2
; %bb.1:
	s_load_b128 s[8:11], s[0:1], 0x0
	s_wait_xcnt 0x0
	s_bfe_u32 s0, ttmp6, 0x40010
	s_bfe_u32 s1, ttmp6, 0x40004
	s_add_co_i32 s0, s0, 1
	s_cvt_f32_i32 s2, s3
	s_mul_i32 s0, ttmp7, s0
	v_mov_b32_e32 v3, 0
	s_add_co_i32 s1, s1, s0
	s_cmp_eq_u32 s4, 0
	v_mov_b32_e32 v2, s2
	s_cselect_b32 s0, ttmp7, s1
	s_delay_alu instid0(SALU_CYCLE_1) | instskip(SKIP_2) | instid1(SALU_CYCLE_1)
	s_ashr_i32 s1, s0, 31
	s_wait_kmcnt 0x0
	s_mul_u64 s[0:1], s[10:11], s[0:1]
	s_lshl_b64 s[0:1], s[0:1], 3
	s_delay_alu instid0(SALU_CYCLE_1)
	s_add_nc_u64 s[0:1], s[8:9], s[0:1]
	global_store_b64 v0, v[2:3], s[0:1] scale_offset
.LBB54_2:
	s_endpgm
	.section	.rodata,"a",@progbits
	.p2align	6, 0x0
	.amdhsa_kernel _ZN9rocsolver6v33100L16reset_batch_infoI19rocblas_complex_numIfEiiPS3_EEvT2_lT0_T1_
		.amdhsa_group_segment_fixed_size 0
		.amdhsa_private_segment_fixed_size 0
		.amdhsa_kernarg_size 280
		.amdhsa_user_sgpr_count 2
		.amdhsa_user_sgpr_dispatch_ptr 0
		.amdhsa_user_sgpr_queue_ptr 0
		.amdhsa_user_sgpr_kernarg_segment_ptr 1
		.amdhsa_user_sgpr_dispatch_id 0
		.amdhsa_user_sgpr_kernarg_preload_length 0
		.amdhsa_user_sgpr_kernarg_preload_offset 0
		.amdhsa_user_sgpr_private_segment_size 0
		.amdhsa_wavefront_size32 1
		.amdhsa_uses_dynamic_stack 0
		.amdhsa_enable_private_segment 0
		.amdhsa_system_sgpr_workgroup_id_x 1
		.amdhsa_system_sgpr_workgroup_id_y 1
		.amdhsa_system_sgpr_workgroup_id_z 0
		.amdhsa_system_sgpr_workgroup_info 0
		.amdhsa_system_vgpr_workitem_id 0
		.amdhsa_next_free_vgpr 4
		.amdhsa_next_free_sgpr 12
		.amdhsa_named_barrier_count 0
		.amdhsa_reserve_vcc 1
		.amdhsa_float_round_mode_32 0
		.amdhsa_float_round_mode_16_64 0
		.amdhsa_float_denorm_mode_32 3
		.amdhsa_float_denorm_mode_16_64 3
		.amdhsa_fp16_overflow 0
		.amdhsa_memory_ordered 1
		.amdhsa_forward_progress 1
		.amdhsa_inst_pref_size 2
		.amdhsa_round_robin_scheduling 0
		.amdhsa_exception_fp_ieee_invalid_op 0
		.amdhsa_exception_fp_denorm_src 0
		.amdhsa_exception_fp_ieee_div_zero 0
		.amdhsa_exception_fp_ieee_overflow 0
		.amdhsa_exception_fp_ieee_underflow 0
		.amdhsa_exception_fp_ieee_inexact 0
		.amdhsa_exception_int_div_zero 0
	.end_amdhsa_kernel
	.section	.text._ZN9rocsolver6v33100L16reset_batch_infoI19rocblas_complex_numIfEiiPS3_EEvT2_lT0_T1_,"axG",@progbits,_ZN9rocsolver6v33100L16reset_batch_infoI19rocblas_complex_numIfEiiPS3_EEvT2_lT0_T1_,comdat
.Lfunc_end54:
	.size	_ZN9rocsolver6v33100L16reset_batch_infoI19rocblas_complex_numIfEiiPS3_EEvT2_lT0_T1_, .Lfunc_end54-_ZN9rocsolver6v33100L16reset_batch_infoI19rocblas_complex_numIfEiiPS3_EEvT2_lT0_T1_
                                        ; -- End function
	.set _ZN9rocsolver6v33100L16reset_batch_infoI19rocblas_complex_numIfEiiPS3_EEvT2_lT0_T1_.num_vgpr, 4
	.set _ZN9rocsolver6v33100L16reset_batch_infoI19rocblas_complex_numIfEiiPS3_EEvT2_lT0_T1_.num_agpr, 0
	.set _ZN9rocsolver6v33100L16reset_batch_infoI19rocblas_complex_numIfEiiPS3_EEvT2_lT0_T1_.numbered_sgpr, 12
	.set _ZN9rocsolver6v33100L16reset_batch_infoI19rocblas_complex_numIfEiiPS3_EEvT2_lT0_T1_.num_named_barrier, 0
	.set _ZN9rocsolver6v33100L16reset_batch_infoI19rocblas_complex_numIfEiiPS3_EEvT2_lT0_T1_.private_seg_size, 0
	.set _ZN9rocsolver6v33100L16reset_batch_infoI19rocblas_complex_numIfEiiPS3_EEvT2_lT0_T1_.uses_vcc, 1
	.set _ZN9rocsolver6v33100L16reset_batch_infoI19rocblas_complex_numIfEiiPS3_EEvT2_lT0_T1_.uses_flat_scratch, 0
	.set _ZN9rocsolver6v33100L16reset_batch_infoI19rocblas_complex_numIfEiiPS3_EEvT2_lT0_T1_.has_dyn_sized_stack, 0
	.set _ZN9rocsolver6v33100L16reset_batch_infoI19rocblas_complex_numIfEiiPS3_EEvT2_lT0_T1_.has_recursion, 0
	.set _ZN9rocsolver6v33100L16reset_batch_infoI19rocblas_complex_numIfEiiPS3_EEvT2_lT0_T1_.has_indirect_call, 0
	.section	.AMDGPU.csdata,"",@progbits
; Kernel info:
; codeLenInByte = 200
; TotalNumSgprs: 14
; NumVgprs: 4
; ScratchSize: 0
; MemoryBound: 0
; FloatMode: 240
; IeeeMode: 1
; LDSByteSize: 0 bytes/workgroup (compile time only)
; SGPRBlocks: 0
; VGPRBlocks: 0
; NumSGPRsForWavesPerEU: 14
; NumVGPRsForWavesPerEU: 4
; NamedBarCnt: 0
; Occupancy: 16
; WaveLimiterHint : 0
; COMPUTE_PGM_RSRC2:SCRATCH_EN: 0
; COMPUTE_PGM_RSRC2:USER_SGPR: 2
; COMPUTE_PGM_RSRC2:TRAP_HANDLER: 0
; COMPUTE_PGM_RSRC2:TGID_X_EN: 1
; COMPUTE_PGM_RSRC2:TGID_Y_EN: 1
; COMPUTE_PGM_RSRC2:TGID_Z_EN: 0
; COMPUTE_PGM_RSRC2:TIDIG_COMP_CNT: 0
	.section	.text._ZN9rocsolver6v33100L10init_identI19rocblas_complex_numIfEPS3_EEviiT0_iil,"axG",@progbits,_ZN9rocsolver6v33100L10init_identI19rocblas_complex_numIfEPS3_EEviiT0_iil,comdat
	.globl	_ZN9rocsolver6v33100L10init_identI19rocblas_complex_numIfEPS3_EEviiT0_iil ; -- Begin function _ZN9rocsolver6v33100L10init_identI19rocblas_complex_numIfEPS3_EEviiT0_iil
	.p2align	8
	.type	_ZN9rocsolver6v33100L10init_identI19rocblas_complex_numIfEPS3_EEviiT0_iil,@function
_ZN9rocsolver6v33100L10init_identI19rocblas_complex_numIfEPS3_EEviiT0_iil: ; @_ZN9rocsolver6v33100L10init_identI19rocblas_complex_numIfEPS3_EEviiT0_iil
; %bb.0:
	s_clause 0x1
	s_load_b32 s5, s[0:1], 0x2c
	s_load_b64 s[2:3], s[0:1], 0x0
	s_bfe_u32 s7, ttmp6, 0x40010
	s_bfe_u32 s10, ttmp6, 0x4000c
	s_and_b32 s6, ttmp7, 0xffff
	s_add_co_i32 s7, s7, 1
	s_add_co_i32 s10, s10, 1
	s_bfe_u32 s8, ttmp6, 0x40004
	s_and_b32 s9, ttmp6, 15
	s_mul_i32 s7, s6, s7
	s_mul_i32 s10, ttmp9, s10
	s_getreg_b32 s4, hwreg(HW_REG_IB_STS2, 6, 4)
	v_and_b32_e32 v1, 0x3ff, v0
	v_bfe_u32 v0, v0, 10, 10
	s_add_co_i32 s8, s8, s7
	s_add_co_i32 s9, s9, s10
	s_wait_kmcnt 0x0
	s_lshr_b32 s7, s5, 16
	s_and_b32 s5, s5, 0xffff
	s_cmp_eq_u32 s4, 0
	s_cselect_b32 s9, ttmp9, s9
	s_cselect_b32 s6, s6, s8
	v_mad_u32 v3, s9, s5, v1
	v_mad_u32 v0, s6, s7, v0
	s_delay_alu instid0(VALU_DEP_2) | instskip(NEXT) | instid1(VALU_DEP_2)
	v_cmp_gt_u32_e32 vcc_lo, s2, v3
	v_cmp_gt_u32_e64 s2, s3, v0
	s_and_b32 s2, vcc_lo, s2
	s_delay_alu instid0(SALU_CYCLE_1)
	s_and_saveexec_b32 s3, s2
	s_cbranch_execz .LBB55_6
; %bb.1:
	s_load_b64 s[2:3], s[0:1], 0x10
	s_mov_b32 s5, exec_lo
                                        ; implicit-def: $vgpr2
	v_cmpx_ne_u32_e64 v3, v0
	s_xor_b32 s5, exec_lo, s5
	s_cbranch_execz .LBB55_3
; %bb.2:
	s_wait_kmcnt 0x0
	v_mad_u32 v2, v0, s3, v3
                                        ; implicit-def: $vgpr3
.LBB55_3:
	s_or_saveexec_b32 s5, s5
	v_dual_mov_b32 v1, 0 :: v_dual_mov_b32 v0, 0
	s_xor_b32 exec_lo, exec_lo, s5
	s_cbranch_execz .LBB55_5
; %bb.4:
	s_wait_kmcnt 0x0
	v_mad_u32 v2, v3, s3, v3
	v_mov_b32_e32 v0, 1.0
.LBB55_5:
	s_or_b32 exec_lo, exec_lo, s5
	s_clause 0x1
	s_load_b64 s[6:7], s[0:1], 0x18
	s_load_b64 s[8:9], s[0:1], 0x8
	s_wait_xcnt 0x0
	s_bfe_u32 s0, ttmp6, 0x40014
	s_lshr_b32 s5, ttmp7, 16
	s_add_co_i32 s0, s0, 1
	s_bfe_u32 s1, ttmp6, 0x40008
	s_mul_i32 s0, s5, s0
	s_wait_kmcnt 0x0
	s_ashr_i32 s3, s2, 31
	s_add_co_i32 s0, s1, s0
	s_cmp_eq_u32 s4, 0
	s_mov_b32 s1, 0
	s_cselect_b32 s0, s5, s0
	s_lshl_b64 s[2:3], s[2:3], 3
	s_mul_u64 s[0:1], s[6:7], s[0:1]
	s_delay_alu instid0(SALU_CYCLE_1) | instskip(NEXT) | instid1(SALU_CYCLE_1)
	s_lshl_b64 s[0:1], s[0:1], 3
	s_add_nc_u64 s[0:1], s[8:9], s[0:1]
	s_delay_alu instid0(SALU_CYCLE_1)
	s_add_nc_u64 s[0:1], s[0:1], s[2:3]
	global_store_b64 v2, v[0:1], s[0:1] scale_offset
.LBB55_6:
	s_endpgm
	.section	.rodata,"a",@progbits
	.p2align	6, 0x0
	.amdhsa_kernel _ZN9rocsolver6v33100L10init_identI19rocblas_complex_numIfEPS3_EEviiT0_iil
		.amdhsa_group_segment_fixed_size 0
		.amdhsa_private_segment_fixed_size 0
		.amdhsa_kernarg_size 288
		.amdhsa_user_sgpr_count 2
		.amdhsa_user_sgpr_dispatch_ptr 0
		.amdhsa_user_sgpr_queue_ptr 0
		.amdhsa_user_sgpr_kernarg_segment_ptr 1
		.amdhsa_user_sgpr_dispatch_id 0
		.amdhsa_user_sgpr_kernarg_preload_length 0
		.amdhsa_user_sgpr_kernarg_preload_offset 0
		.amdhsa_user_sgpr_private_segment_size 0
		.amdhsa_wavefront_size32 1
		.amdhsa_uses_dynamic_stack 0
		.amdhsa_enable_private_segment 0
		.amdhsa_system_sgpr_workgroup_id_x 1
		.amdhsa_system_sgpr_workgroup_id_y 1
		.amdhsa_system_sgpr_workgroup_id_z 1
		.amdhsa_system_sgpr_workgroup_info 0
		.amdhsa_system_vgpr_workitem_id 1
		.amdhsa_next_free_vgpr 4
		.amdhsa_next_free_sgpr 11
		.amdhsa_named_barrier_count 0
		.amdhsa_reserve_vcc 1
		.amdhsa_float_round_mode_32 0
		.amdhsa_float_round_mode_16_64 0
		.amdhsa_float_denorm_mode_32 3
		.amdhsa_float_denorm_mode_16_64 3
		.amdhsa_fp16_overflow 0
		.amdhsa_memory_ordered 1
		.amdhsa_forward_progress 1
		.amdhsa_inst_pref_size 3
		.amdhsa_round_robin_scheduling 0
		.amdhsa_exception_fp_ieee_invalid_op 0
		.amdhsa_exception_fp_denorm_src 0
		.amdhsa_exception_fp_ieee_div_zero 0
		.amdhsa_exception_fp_ieee_overflow 0
		.amdhsa_exception_fp_ieee_underflow 0
		.amdhsa_exception_fp_ieee_inexact 0
		.amdhsa_exception_int_div_zero 0
	.end_amdhsa_kernel
	.section	.text._ZN9rocsolver6v33100L10init_identI19rocblas_complex_numIfEPS3_EEviiT0_iil,"axG",@progbits,_ZN9rocsolver6v33100L10init_identI19rocblas_complex_numIfEPS3_EEviiT0_iil,comdat
.Lfunc_end55:
	.size	_ZN9rocsolver6v33100L10init_identI19rocblas_complex_numIfEPS3_EEviiT0_iil, .Lfunc_end55-_ZN9rocsolver6v33100L10init_identI19rocblas_complex_numIfEPS3_EEviiT0_iil
                                        ; -- End function
	.set _ZN9rocsolver6v33100L10init_identI19rocblas_complex_numIfEPS3_EEviiT0_iil.num_vgpr, 4
	.set _ZN9rocsolver6v33100L10init_identI19rocblas_complex_numIfEPS3_EEviiT0_iil.num_agpr, 0
	.set _ZN9rocsolver6v33100L10init_identI19rocblas_complex_numIfEPS3_EEviiT0_iil.numbered_sgpr, 11
	.set _ZN9rocsolver6v33100L10init_identI19rocblas_complex_numIfEPS3_EEviiT0_iil.num_named_barrier, 0
	.set _ZN9rocsolver6v33100L10init_identI19rocblas_complex_numIfEPS3_EEviiT0_iil.private_seg_size, 0
	.set _ZN9rocsolver6v33100L10init_identI19rocblas_complex_numIfEPS3_EEviiT0_iil.uses_vcc, 1
	.set _ZN9rocsolver6v33100L10init_identI19rocblas_complex_numIfEPS3_EEviiT0_iil.uses_flat_scratch, 0
	.set _ZN9rocsolver6v33100L10init_identI19rocblas_complex_numIfEPS3_EEviiT0_iil.has_dyn_sized_stack, 0
	.set _ZN9rocsolver6v33100L10init_identI19rocblas_complex_numIfEPS3_EEviiT0_iil.has_recursion, 0
	.set _ZN9rocsolver6v33100L10init_identI19rocblas_complex_numIfEPS3_EEviiT0_iil.has_indirect_call, 0
	.section	.AMDGPU.csdata,"",@progbits
; Kernel info:
; codeLenInByte = 376
; TotalNumSgprs: 13
; NumVgprs: 4
; ScratchSize: 0
; MemoryBound: 0
; FloatMode: 240
; IeeeMode: 1
; LDSByteSize: 0 bytes/workgroup (compile time only)
; SGPRBlocks: 0
; VGPRBlocks: 0
; NumSGPRsForWavesPerEU: 13
; NumVGPRsForWavesPerEU: 4
; NamedBarCnt: 0
; Occupancy: 16
; WaveLimiterHint : 0
; COMPUTE_PGM_RSRC2:SCRATCH_EN: 0
; COMPUTE_PGM_RSRC2:USER_SGPR: 2
; COMPUTE_PGM_RSRC2:TRAP_HANDLER: 0
; COMPUTE_PGM_RSRC2:TGID_X_EN: 1
; COMPUTE_PGM_RSRC2:TGID_Y_EN: 1
; COMPUTE_PGM_RSRC2:TGID_Z_EN: 1
; COMPUTE_PGM_RSRC2:TIDIG_COMP_CNT: 1
	.section	.text._ZN9rocsolver6v33100L11lasr_kernelI19rocblas_complex_numIfEfPS3_iEEv13rocblas_side_14rocblas_pivot_15rocblas_direct_T2_S8_PT0_lSA_lT1_lS8_lS8_,"axG",@progbits,_ZN9rocsolver6v33100L11lasr_kernelI19rocblas_complex_numIfEfPS3_iEEv13rocblas_side_14rocblas_pivot_15rocblas_direct_T2_S8_PT0_lSA_lT1_lS8_lS8_,comdat
	.globl	_ZN9rocsolver6v33100L11lasr_kernelI19rocblas_complex_numIfEfPS3_iEEv13rocblas_side_14rocblas_pivot_15rocblas_direct_T2_S8_PT0_lSA_lT1_lS8_lS8_ ; -- Begin function _ZN9rocsolver6v33100L11lasr_kernelI19rocblas_complex_numIfEfPS3_iEEv13rocblas_side_14rocblas_pivot_15rocblas_direct_T2_S8_PT0_lSA_lT1_lS8_lS8_
	.p2align	8
	.type	_ZN9rocsolver6v33100L11lasr_kernelI19rocblas_complex_numIfEfPS3_iEEv13rocblas_side_14rocblas_pivot_15rocblas_direct_T2_S8_PT0_lSA_lT1_lS8_lS8_,@function
_ZN9rocsolver6v33100L11lasr_kernelI19rocblas_complex_numIfEfPS3_iEEv13rocblas_side_14rocblas_pivot_15rocblas_direct_T2_S8_PT0_lSA_lT1_lS8_lS8_: ; @_ZN9rocsolver6v33100L11lasr_kernelI19rocblas_complex_numIfEfPS3_iEEv13rocblas_side_14rocblas_pivot_15rocblas_direct_T2_S8_PT0_lSA_lT1_lS8_lS8_
; %bb.0:
	s_load_b32 s33, s[0:1], 0x58
	s_bfe_u32 s2, ttmp6, 0x40014
	s_lshr_b32 s3, ttmp7, 16
	s_add_co_i32 s2, s2, 1
	s_bfe_u32 s5, ttmp6, 0x40008
	s_mul_i32 s2, s3, s2
	s_getreg_b32 s4, hwreg(HW_REG_IB_STS2, 6, 4)
	s_add_co_i32 s5, s5, s2
	s_cmp_eq_u32 s4, 0
	s_cselect_b32 s2, s3, s5
	s_mov_b32 s3, 0
	s_wait_kmcnt 0x0
	s_cmp_ge_u32 s2, s33
	s_cbranch_scc1 .LBB56_108
; %bb.1:
	s_clause 0x3
	s_load_b32 s20, s[0:1], 0x48
	s_load_b64 s[22:23], s[0:1], 0x68
	s_load_b128 s[16:19], s[0:1], 0x38
	s_load_b128 s[12:15], s[0:1], 0x0
	s_bfe_u32 s5, ttmp6, 0x4000c
	s_and_b32 s6, ttmp6, 15
	s_add_co_i32 s5, s5, 1
	s_load_b32 s24, s[0:1], 0x60
	s_mul_i32 s5, ttmp9, s5
	s_mov_b32 s37, s3
	s_add_co_i32 s6, s6, s5
	s_mov_b32 s49, s3
	s_wait_kmcnt 0x0
	s_ashr_i32 s21, s20, 31
	s_and_b32 s25, s23, 0xffff
	s_cmp_eq_u32 s4, 0
	s_load_b32 s23, s[0:1], 0x10
	s_cselect_b32 s26, ttmp9, s6
	s_lshl_b64 s[46:47], s[18:19], 3
	v_mad_u32 v0, s26, s25, v0
	s_cmp_eq_u32 s12, 0x8d
	s_load_b64 s[18:19], s[0:1], 0x50
	s_cselect_b32 s27, -1, 0
	s_cmp_eq_u32 s12, 0x8e
	s_load_b256 s[4:11], s[0:1], 0x18
	s_cselect_b32 s28, -1, 0
	s_cmp_eq_u32 s13, 0x119
	s_mul_i32 s12, s24, s25
	s_cselect_b32 s29, -1, 0
	s_cmp_eq_u32 s13, 0x11b
	v_ashrrev_i32_e32 v1, 31, v0
	s_wait_xcnt 0x0
	s_cselect_b32 s0, -1, 0
	s_cmp_eq_u32 s13, 0x11a
	s_add_nc_u64 s[24:25], s[16:17], s[46:47]
	s_cselect_b32 s1, -1, 0
	v_mul_u64_e32 v[10:11], s[20:21], v[0:1]
	s_cmp_eq_u32 s14, 0xab
	v_lshlrev_b64_e32 v[8:9], 3, v[0:1]
	s_cselect_b32 s13, -1, 0
	s_cmp_eq_u32 s14, 0xac
	v_mov_b32_e32 v1, 0
	s_cselect_b32 s26, -1, 0
	s_and_b32 s14, s27, s29
	s_and_b32 s30, s27, s1
	;; [unrolled: 1-line block ×5, first 2 shown]
	s_xor_b32 s14, s31, -1
	s_and_b32 s31, s27, s13
	s_and_b32 s29, s28, s29
	;; [unrolled: 1-line block ×4, first 2 shown]
	s_xor_b32 s80, s27, -1
	s_and_b32 s27, s29, s26
	s_and_b32 s30, s30, s26
	s_xor_b32 s82, s27, -1
	s_and_b32 s27, s28, s0
	v_cmp_gt_i32_e64 s0, s15, v0
	s_and_b32 s1, s28, s1
	s_xor_b32 s78, s30, -1
	s_and_b32 s30, s29, s13
	s_and_b32 s29, s1, s13
	;; [unrolled: 1-line block ×4, first 2 shown]
	s_xor_b32 s84, s1, -1
	s_and_b32 s1, s26, s0
	s_wait_kmcnt 0x0
	s_add_co_i32 s26, s23, -1
	s_xor_b32 s76, s34, -1
	s_xor_b32 s77, s35, -1
	;; [unrolled: 1-line block ×6, first 2 shown]
	s_and_b32 s86, s27, s1
	s_ashr_i32 s27, s26, 31
	s_add_co_i32 s36, s23, -2
	s_cmp_gt_i32 s23, 1
	s_mul_u64 s[28:29], s[20:21], s[26:27]
	s_mov_b32 s27, s3
	s_cselect_b32 s87, -1, 0
	s_ashr_i32 s31, s15, 31
	s_add_co_i32 s48, s15, -2
	s_cmp_gt_i32 s15, 1
	s_mul_u64 s[50:51], s[20:21], s[26:27]
	s_cselect_b32 s88, -1, 0
	s_lshl_b64 s[38:39], s[36:37], 2
	s_mul_u64 s[36:37], s[20:21], s[36:37]
	s_lshl_b64 s[50:51], s[50:51], 3
	s_lshl_b64 s[36:37], s[36:37], 3
	;; [unrolled: 1-line block ×3, first 2 shown]
	s_add_nc_u64 s[50:51], s[50:51], s[46:47]
	s_add_nc_u64 s[40:41], s[36:37], s[46:47]
	;; [unrolled: 1-line block ×4, first 2 shown]
	v_lshl_add_u64 v[14:15], v[10:11], 3, s[46:47]
	s_add_nc_u64 s[34:35], s[4:5], s[38:39]
	s_add_nc_u64 s[36:37], s[8:9], s[38:39]
	;; [unrolled: 1-line block ×4, first 2 shown]
	v_add_nc_u64_e32 v[6:7], s[50:51], v[8:9]
	s_lshl_b64 s[50:51], s[48:49], 3
	v_add_nc_u64_e32 v[2:3], s[38:39], v[8:9]
	v_add_nc_u64_e32 v[4:5], s[24:25], v[8:9]
	;; [unrolled: 1-line block ×3, first 2 shown]
	s_lshl_b64 s[52:53], s[48:49], 2
	s_add_nc_u64 s[48:49], s[16:17], s[50:51]
	v_add_nc_u64_e32 v[10:11], s[16:17], v[14:15]
	v_add_nc_u64_e32 v[12:13], s[48:49], v[14:15]
	s_add_co_i32 s46, s15, -1
	s_mov_b32 s47, s3
	s_ashr_i32 s13, s12, 31
	s_lshl_b64 s[50:51], s[46:47], 3
	v_cmp_gt_i32_e64 s1, s23, v0
	s_add_nc_u64 s[16:17], s[16:17], s[50:51]
	v_add_nc_u64_e32 v[16:17], 8, v[10:11]
	v_add_nc_u64_e32 v[14:15], s[16:17], v[14:15]
	;; [unrolled: 1-line block ×3, first 2 shown]
	s_mul_u64 s[50:51], s[20:21], s[12:13]
	s_mov_b32 s30, s15
	s_lshl_b64 s[6:7], s[6:7], 2
	s_lshl_b64 s[10:11], s[10:11], 2
	;; [unrolled: 1-line block ×4, first 2 shown]
	s_sub_nc_u64 s[44:45], 0, s[42:43]
	s_add_co_i32 s27, s23, 1
	s_add_nc_u64 s[48:49], s[4:5], s[52:53]
	s_add_nc_u64 s[16:17], s[8:9], s[52:53]
	s_lshl_b64 s[50:51], s[50:51], 3
	s_add_co_i32 s13, s15, 1
	s_branch .LBB56_4
.LBB56_2:                               ;   in Loop: Header=BB56_4 Depth=1
	s_or_b32 exec_lo, exec_lo, s47
.LBB56_3:                               ;   in Loop: Header=BB56_4 Depth=1
	s_add_co_i32 s2, s2, s22
	s_delay_alu instid0(SALU_CYCLE_1)
	s_cmp_ge_u32 s2, s33
	s_cbranch_scc1 .LBB56_108
.LBB56_4:                               ; =>This Loop Header: Depth=1
                                        ;     Child Loop BB56_19 Depth 2
                                        ;       Child Loop BB56_20 Depth 3
                                        ;     Child Loop BB56_26 Depth 2
                                        ;       Child Loop BB56_27 Depth 3
	;; [unrolled: 2-line block ×12, first 2 shown]
	s_mul_u64 s[62:63], s[38:39], s[2:3]
	s_mul_u64 s[54:55], s[18:19], s[2:3]
	v_add_nc_u64_e32 v[20:21], s[62:63], v[16:17]
	s_mul_u64 s[64:65], s[6:7], s[2:3]
	s_mul_u64 s[66:67], s[10:11], s[2:3]
	s_lshl_b64 s[56:57], s[54:55], 3
	s_add_nc_u64 s[52:53], s[4:5], s[64:65]
	s_add_nc_u64 s[54:55], s[8:9], s[66:67]
	;; [unrolled: 1-line block ×3, first 2 shown]
	s_and_b32 vcc_lo, exec_lo, s14
	s_mov_b32 s47, -1
	s_cbranch_vccnz .LBB56_6
; %bb.5:                                ;   in Loop: Header=BB56_4 Depth=1
	s_and_not1_b32 vcc_lo, exec_lo, s47
	s_cbranch_vccnz .LBB56_3
	s_branch .LBB56_103
.LBB56_6:                               ;   in Loop: Header=BB56_4 Depth=1
	s_add_nc_u64 s[58:59], s[48:49], s[64:65]
	s_add_nc_u64 s[60:61], s[16:17], s[66:67]
	s_and_b32 vcc_lo, exec_lo, s76
	s_cbranch_vccz .LBB56_95
; %bb.7:                                ;   in Loop: Header=BB56_4 Depth=1
	s_and_b32 vcc_lo, exec_lo, s77
	s_cbranch_vccz .LBB56_87
; %bb.8:                                ;   in Loop: Header=BB56_4 Depth=1
	s_and_b32 vcc_lo, exec_lo, s78
	s_cbranch_vccz .LBB56_79
; %bb.9:                                ;   in Loop: Header=BB56_4 Depth=1
	s_and_b32 vcc_lo, exec_lo, s79
	s_cbranch_vccz .LBB56_71
; %bb.10:                               ;   in Loop: Header=BB56_4 Depth=1
	s_and_b32 vcc_lo, exec_lo, s80
	s_cbranch_vccz .LBB56_63
; %bb.11:                               ;   in Loop: Header=BB56_4 Depth=1
	v_add_nc_u64_e32 v[22:23], s[62:63], v[4:5]
	s_and_b32 vcc_lo, exec_lo, s81
	s_cbranch_vccz .LBB56_55
; %bb.12:                               ;   in Loop: Header=BB56_4 Depth=1
	v_add_nc_u64_e32 v[24:25], s[62:63], v[6:7]
	v_add_nc_u64_e32 v[26:27], s[62:63], v[2:3]
	s_add_nc_u64 s[64:65], s[34:35], s[64:65]
	s_add_nc_u64 s[66:67], s[36:37], s[66:67]
	s_and_b32 vcc_lo, exec_lo, s82
	s_cbranch_vccz .LBB56_46
; %bb.13:                               ;   in Loop: Header=BB56_4 Depth=1
	s_and_b32 vcc_lo, exec_lo, s83
	s_cbranch_vccz .LBB56_38
; %bb.14:                               ;   in Loop: Header=BB56_4 Depth=1
	;; [unrolled: 3-line block ×4, first 2 shown]
	s_and_saveexec_b32 s47, s86
	s_cbranch_execz .LBB56_21
; %bb.17:                               ;   in Loop: Header=BB56_4 Depth=1
	v_mov_b64_e32 v[28:29], v[26:27]
	v_mov_b32_e32 v30, v0
	s_lshl_b64 s[68:69], s[28:29], 3
	s_mov_b32 s74, 0
	s_add_nc_u64 s[68:69], s[56:57], s[68:69]
	s_branch .LBB56_19
.LBB56_18:                              ;   in Loop: Header=BB56_19 Depth=2
	v_ashrrev_i32_e32 v31, 31, v30
	v_add_nc_u64_e32 v[28:29], s[40:41], v[28:29]
	s_delay_alu instid0(VALU_DEP_2)
	v_lshl_add_u64 v[34:35], v[30:31], 3, s[68:69]
	s_wait_xcnt 0x0
	v_add_nc_u32_e32 v30, s12, v30
	s_wait_loadcnt 0x0
	global_store_b64 v[34:35], v[32:33], off
	v_cmp_le_i32_e32 vcc_lo, s15, v30
	s_or_b32 s74, vcc_lo, s74
	s_wait_xcnt 0x0
	s_and_not1_b32 exec_lo, exec_lo, s74
	s_cbranch_execz .LBB56_21
.LBB56_19:                              ;   Parent Loop BB56_4 Depth=1
                                        ; =>  This Loop Header: Depth=2
                                        ;       Child Loop BB56_20 Depth 3
	global_load_b64 v[32:33], v30, s[68:69] scale_offset
	v_mov_b64_e32 v[34:35], v[28:29]
	s_and_not1_b32 vcc_lo, exec_lo, s87
	s_mov_b64 s[70:71], s[66:67]
	s_mov_b64 s[72:73], s[64:65]
	s_mov_b32 s75, s26
	s_cbranch_vccnz .LBB56_18
.LBB56_20:                              ;   Parent Loop BB56_4 Depth=1
                                        ;     Parent Loop BB56_19 Depth=2
                                        ; =>    This Inner Loop Header: Depth=3
	global_load_b64 v[36:37], v[34:35], off
	s_clause 0x1
	global_load_b32 v38, v1, s[72:73]
	global_load_b32 v40, v1, s[70:71]
	s_add_co_i32 s75, s75, -1
	s_wait_xcnt 0x1
	s_add_nc_u64 s[72:73], s[72:73], -4
	s_cmp_eq_u32 s75, 0
	s_wait_xcnt 0x0
	s_add_nc_u64 s[70:71], s[70:71], -4
	s_wait_loadcnt 0x1
	v_pk_mul_f32 v[42:43], v[38:39], v[36:37] op_sel_hi:[0,1]
	s_wait_loadcnt 0x0
	v_pk_mul_f32 v[36:37], v[40:41], v[36:37] op_sel_hi:[0,1]
	s_delay_alu instid0(VALU_DEP_2) | instskip(NEXT) | instid1(VALU_DEP_2)
	v_pk_fma_f32 v[42:43], v[32:33], v[40:41], v[42:43] op_sel_hi:[1,0,1]
	v_pk_fma_f32 v[32:33], v[32:33], v[38:39], v[36:37] op_sel_hi:[1,0,1] neg_lo:[0,0,1] neg_hi:[0,0,1]
	global_store_b64 v[34:35], v[42:43], off
	s_wait_xcnt 0x0
	v_add_nc_u64_e32 v[34:35], s[44:45], v[34:35]
	s_cbranch_scc0 .LBB56_20
	s_branch .LBB56_18
.LBB56_21:                              ;   in Loop: Header=BB56_4 Depth=1
	s_or_b32 exec_lo, exec_lo, s47
	s_mov_b32 s47, 0
.LBB56_22:                              ;   in Loop: Header=BB56_4 Depth=1
	s_delay_alu instid0(SALU_CYCLE_1)
	s_and_not1_b32 vcc_lo, exec_lo, s47
	s_cbranch_vccnz .LBB56_29
; %bb.23:                               ;   in Loop: Header=BB56_4 Depth=1
	s_and_saveexec_b32 s47, s0
	s_cbranch_execz .LBB56_28
; %bb.24:                               ;   in Loop: Header=BB56_4 Depth=1
	v_mov_b64_e32 v[28:29], v[22:23]
	v_mov_b32_e32 v30, v0
	s_lshl_b64 s[68:69], s[28:29], 3
	s_mov_b32 s74, 0
	s_add_nc_u64 s[68:69], s[56:57], s[68:69]
	s_branch .LBB56_26
.LBB56_25:                              ;   in Loop: Header=BB56_26 Depth=2
	v_ashrrev_i32_e32 v31, 31, v30
	v_add_nc_u64_e32 v[28:29], s[40:41], v[28:29]
	s_delay_alu instid0(VALU_DEP_2)
	v_lshl_add_u64 v[34:35], v[30:31], 3, s[68:69]
	s_wait_xcnt 0x0
	v_add_nc_u32_e32 v30, s12, v30
	s_wait_loadcnt 0x0
	global_store_b64 v[34:35], v[32:33], off
	v_cmp_le_i32_e32 vcc_lo, s15, v30
	s_or_b32 s74, vcc_lo, s74
	s_wait_xcnt 0x0
	s_and_not1_b32 exec_lo, exec_lo, s74
	s_cbranch_execz .LBB56_28
.LBB56_26:                              ;   Parent Loop BB56_4 Depth=1
                                        ; =>  This Loop Header: Depth=2
                                        ;       Child Loop BB56_27 Depth 3
	global_load_b64 v[32:33], v30, s[68:69] scale_offset
	v_mov_b64_e32 v[34:35], v[28:29]
	s_and_not1_b32 vcc_lo, exec_lo, s87
	s_mov_b64 s[70:71], s[54:55]
	s_mov_b64 s[72:73], s[52:53]
	s_mov_b32 s75, s26
	s_cbranch_vccnz .LBB56_25
.LBB56_27:                              ;   Parent Loop BB56_4 Depth=1
                                        ;     Parent Loop BB56_26 Depth=2
                                        ; =>    This Inner Loop Header: Depth=3
	global_load_b64 v[36:37], v[34:35], off
	s_clause 0x1
	global_load_b32 v38, v1, s[72:73]
	global_load_b32 v40, v1, s[70:71]
	s_add_co_i32 s75, s75, -1
	s_wait_xcnt 0x1
	s_add_nc_u64 s[72:73], s[72:73], 4
	s_cmp_eq_u32 s75, 0
	s_wait_xcnt 0x0
	s_add_nc_u64 s[70:71], s[70:71], 4
	s_wait_loadcnt 0x1
	v_pk_mul_f32 v[42:43], v[38:39], v[36:37] op_sel_hi:[0,1]
	s_wait_loadcnt 0x0
	v_pk_mul_f32 v[36:37], v[40:41], v[36:37] op_sel_hi:[0,1]
	s_delay_alu instid0(VALU_DEP_2) | instskip(NEXT) | instid1(VALU_DEP_2)
	v_pk_fma_f32 v[42:43], v[32:33], v[40:41], v[42:43] op_sel_hi:[1,0,1]
	v_pk_fma_f32 v[32:33], v[32:33], v[38:39], v[36:37] op_sel_hi:[1,0,1] neg_lo:[0,0,1] neg_hi:[0,0,1]
	global_store_b64 v[34:35], v[42:43], off
	s_wait_xcnt 0x0
	v_add_nc_u64_e32 v[34:35], s[42:43], v[34:35]
	s_cbranch_scc0 .LBB56_27
	s_branch .LBB56_25
.LBB56_28:                              ;   in Loop: Header=BB56_4 Depth=1
	s_or_b32 exec_lo, exec_lo, s47
.LBB56_29:                              ;   in Loop: Header=BB56_4 Depth=1
	s_mov_b32 s47, 0
.LBB56_30:                              ;   in Loop: Header=BB56_4 Depth=1
	s_delay_alu instid0(SALU_CYCLE_1)
	s_and_not1_b32 vcc_lo, exec_lo, s47
	s_cbranch_vccnz .LBB56_37
; %bb.31:                               ;   in Loop: Header=BB56_4 Depth=1
	s_and_saveexec_b32 s47, s0
	s_cbranch_execz .LBB56_36
; %bb.32:                               ;   in Loop: Header=BB56_4 Depth=1
	v_mov_b64_e32 v[28:29], v[24:25]
	v_mov_b32_e32 v30, v0
	s_mov_b32 s72, 0
	s_branch .LBB56_34
.LBB56_33:                              ;   in Loop: Header=BB56_34 Depth=2
	v_ashrrev_i32_e32 v31, 31, v30
	v_add_nc_u64_e32 v[28:29], s[40:41], v[28:29]
	s_delay_alu instid0(VALU_DEP_2)
	v_lshl_add_u64 v[34:35], v[30:31], 3, s[56:57]
	s_wait_xcnt 0x0
	v_add_nc_u32_e32 v30, s12, v30
	s_wait_loadcnt 0x0
	global_store_b64 v[34:35], v[32:33], off
	v_cmp_le_i32_e32 vcc_lo, s15, v30
	s_or_b32 s72, vcc_lo, s72
	s_wait_xcnt 0x0
	s_and_not1_b32 exec_lo, exec_lo, s72
	s_cbranch_execz .LBB56_36
.LBB56_34:                              ;   Parent Loop BB56_4 Depth=1
                                        ; =>  This Loop Header: Depth=2
                                        ;       Child Loop BB56_35 Depth 3
	global_load_b64 v[32:33], v30, s[56:57] scale_offset
	v_mov_b64_e32 v[34:35], v[28:29]
	s_and_not1_b32 vcc_lo, exec_lo, s87
	s_mov_b64 s[68:69], s[66:67]
	s_mov_b64 s[70:71], s[64:65]
	s_mov_b32 s73, s27
	s_cbranch_vccnz .LBB56_33
.LBB56_35:                              ;   Parent Loop BB56_4 Depth=1
                                        ;     Parent Loop BB56_34 Depth=2
                                        ; =>    This Inner Loop Header: Depth=3
	s_clause 0x1
	global_load_b32 v36, v1, s[68:69]
	global_load_b32 v38, v1, s[70:71]
	global_load_b64 v[40:41], v[34:35], off
	s_add_co_i32 s73, s73, -1
	s_wait_xcnt 0x1
	s_add_nc_u64 s[70:71], s[70:71], -4
	s_cmp_lt_u32 s73, 3
	s_add_nc_u64 s[68:69], s[68:69], -4
	s_wait_loadcnt 0x2
	v_pk_mul_f32 v[42:43], v[32:33], v[36:37] op_sel_hi:[1,0]
	s_wait_loadcnt 0x0
	v_pk_mul_f32 v[36:37], v[36:37], v[40:41] op_sel_hi:[0,1]
	s_delay_alu instid0(VALU_DEP_2) | instskip(NEXT) | instid1(VALU_DEP_2)
	v_pk_fma_f32 v[42:43], v[38:39], v[40:41], v[42:43] op_sel_hi:[0,1,1] neg_lo:[0,0,1] neg_hi:[0,0,1]
	v_pk_fma_f32 v[32:33], v[32:33], v[38:39], v[36:37] op_sel_hi:[1,0,1]
	global_store_b64 v[34:35], v[42:43], off
	s_wait_xcnt 0x0
	v_add_nc_u64_e32 v[34:35], s[44:45], v[34:35]
	s_cbranch_scc0 .LBB56_35
	s_branch .LBB56_33
.LBB56_36:                              ;   in Loop: Header=BB56_4 Depth=1
	s_or_b32 exec_lo, exec_lo, s47
.LBB56_37:                              ;   in Loop: Header=BB56_4 Depth=1
	s_mov_b32 s47, 0
.LBB56_38:                              ;   in Loop: Header=BB56_4 Depth=1
	s_delay_alu instid0(SALU_CYCLE_1)
	s_and_not1_b32 vcc_lo, exec_lo, s47
	s_cbranch_vccnz .LBB56_45
; %bb.39:                               ;   in Loop: Header=BB56_4 Depth=1
	s_and_saveexec_b32 s47, s0
	s_cbranch_execz .LBB56_44
; %bb.40:                               ;   in Loop: Header=BB56_4 Depth=1
	v_add_nc_u64_e32 v[28:29], s[62:63], v[8:9]
	v_mov_b32_e32 v30, v0
	s_mov_b32 s72, 0
	s_branch .LBB56_42
.LBB56_41:                              ;   in Loop: Header=BB56_42 Depth=2
	v_ashrrev_i32_e32 v31, 31, v30
	v_add_nc_u64_e32 v[28:29], s[40:41], v[28:29]
	s_delay_alu instid0(VALU_DEP_2)
	v_lshl_add_u64 v[34:35], v[30:31], 3, s[56:57]
	s_wait_xcnt 0x0
	v_add_nc_u32_e32 v30, s12, v30
	s_wait_loadcnt 0x0
	global_store_b64 v[34:35], v[32:33], off
	v_cmp_le_i32_e32 vcc_lo, s15, v30
	s_or_b32 s72, vcc_lo, s72
	s_wait_xcnt 0x0
	s_and_not1_b32 exec_lo, exec_lo, s72
	s_cbranch_execz .LBB56_44
.LBB56_42:                              ;   Parent Loop BB56_4 Depth=1
                                        ; =>  This Loop Header: Depth=2
                                        ;       Child Loop BB56_43 Depth 3
	global_load_b64 v[32:33], v30, s[56:57] scale_offset
	v_mov_b64_e32 v[34:35], v[28:29]
	s_and_not1_b32 vcc_lo, exec_lo, s87
	s_mov_b32 s73, s26
	s_mov_b64 s[68:69], s[52:53]
	s_mov_b64 s[70:71], s[54:55]
	s_cbranch_vccnz .LBB56_41
.LBB56_43:                              ;   Parent Loop BB56_4 Depth=1
                                        ;     Parent Loop BB56_42 Depth=2
                                        ; =>    This Inner Loop Header: Depth=3
	s_clause 0x1
	global_load_b32 v36, v1, s[70:71]
	global_load_b32 v38, v1, s[68:69]
	global_load_b64 v[40:41], v[34:35], off
	s_add_co_i32 s73, s73, -1
	s_wait_xcnt 0x2
	s_add_nc_u64 s[70:71], s[70:71], 4
	s_cmp_eq_u32 s73, 0
	s_wait_xcnt 0x1
	s_add_nc_u64 s[68:69], s[68:69], 4
	s_wait_loadcnt 0x2
	v_pk_mul_f32 v[42:43], v[32:33], v[36:37] op_sel_hi:[1,0]
	s_wait_loadcnt 0x0
	v_pk_mul_f32 v[36:37], v[36:37], v[40:41] op_sel_hi:[0,1]
	s_delay_alu instid0(VALU_DEP_2) | instskip(NEXT) | instid1(VALU_DEP_2)
	v_pk_fma_f32 v[42:43], v[38:39], v[40:41], v[42:43] op_sel_hi:[0,1,1] neg_lo:[0,0,1] neg_hi:[0,0,1]
	v_pk_fma_f32 v[32:33], v[32:33], v[38:39], v[36:37] op_sel_hi:[1,0,1]
	global_store_b64 v[34:35], v[42:43], off
	s_wait_xcnt 0x0
	v_add_nc_u64_e32 v[34:35], s[42:43], v[34:35]
	s_cbranch_scc0 .LBB56_43
	s_branch .LBB56_41
.LBB56_44:                              ;   in Loop: Header=BB56_4 Depth=1
	s_or_b32 exec_lo, exec_lo, s47
.LBB56_45:                              ;   in Loop: Header=BB56_4 Depth=1
	s_mov_b32 s47, 0
.LBB56_46:                              ;   in Loop: Header=BB56_4 Depth=1
	s_delay_alu instid0(SALU_CYCLE_1)
	s_and_not1_b32 vcc_lo, exec_lo, s47
	s_cbranch_vccnz .LBB56_54
; %bb.47:                               ;   in Loop: Header=BB56_4 Depth=1
	s_and_saveexec_b32 s47, s0
	s_cbranch_execz .LBB56_53
; %bb.48:                               ;   in Loop: Header=BB56_4 Depth=1
	v_mov_b32_e32 v28, v0
	s_lshl_b64 s[68:69], s[28:29], 3
	s_mov_b32 s89, 0
	s_add_nc_u64 s[68:69], s[56:57], s[68:69]
	s_branch .LBB56_50
.LBB56_49:                              ;   in Loop: Header=BB56_50 Depth=2
	v_ashrrev_i32_e32 v29, 31, v28
	v_add_nc_u64_e32 v[24:25], s[40:41], v[24:25]
	v_add_nc_u64_e32 v[26:27], s[40:41], v[26:27]
	s_delay_alu instid0(VALU_DEP_3)
	v_lshl_add_u64 v[32:33], v[28:29], 3, s[56:57]
	s_wait_xcnt 0x0
	v_add_nc_u32_e32 v28, s12, v28
	s_wait_loadcnt 0x0
	global_store_b64 v[32:33], v[30:31], off
	v_cmp_le_i32_e32 vcc_lo, s15, v28
	s_or_b32 s89, vcc_lo, s89
	s_wait_xcnt 0x0
	s_and_not1_b32 exec_lo, exec_lo, s89
	s_cbranch_execz .LBB56_53
.LBB56_50:                              ;   Parent Loop BB56_4 Depth=1
                                        ; =>  This Loop Header: Depth=2
                                        ;       Child Loop BB56_52 Depth 3
	global_load_b64 v[30:31], v28, s[68:69] scale_offset
	s_and_not1_b32 vcc_lo, exec_lo, s87
	s_cbranch_vccnz .LBB56_49
; %bb.51:                               ;   in Loop: Header=BB56_50 Depth=2
	s_mov_b64 s[70:71], 0
	s_mov_b64 s[72:73], s[66:67]
	;; [unrolled: 1-line block ×3, first 2 shown]
	s_mov_b32 s90, s26
.LBB56_52:                              ;   Parent Loop BB56_4 Depth=1
                                        ;     Parent Loop BB56_50 Depth=2
                                        ; =>    This Inner Loop Header: Depth=3
	v_add_nc_u64_e32 v[32:33], s[70:71], v[26:27]
	s_wait_xcnt 0x0
	v_add_nc_u64_e32 v[40:41], s[70:71], v[24:25]
	s_add_co_i32 s90, s90, -1
	s_sub_nc_u64 s[70:71], s[70:71], s[42:43]
	s_cmp_eq_u32 s90, 0
	s_clause 0x1
	global_load_b32 v34, v1, s[74:75]
	global_load_b32 v36, v1, s[72:73]
	global_load_b64 v[32:33], v[32:33], off
	s_wait_xcnt 0x2
	s_add_nc_u64 s[74:75], s[74:75], -4
	s_wait_xcnt 0x1
	s_add_nc_u64 s[72:73], s[72:73], -4
	s_wait_loadcnt 0x0
	v_pk_mul_f32 v[38:39], v[36:37], v[32:33] op_sel_hi:[0,1]
	s_wait_xcnt 0x0
	v_pk_mul_f32 v[32:33], v[34:35], v[32:33] op_sel_hi:[0,1]
	s_delay_alu instid0(VALU_DEP_2) | instskip(NEXT) | instid1(VALU_DEP_2)
	v_pk_fma_f32 v[34:35], v[30:31], v[34:35], v[38:39] op_sel_hi:[1,0,1] neg_lo:[0,0,1] neg_hi:[0,0,1]
	v_pk_fma_f32 v[30:31], v[30:31], v[36:37], v[32:33] op_sel_hi:[1,0,1]
	global_store_b64 v[40:41], v[34:35], off
	s_cbranch_scc0 .LBB56_52
	s_branch .LBB56_49
.LBB56_53:                              ;   in Loop: Header=BB56_4 Depth=1
	s_or_b32 exec_lo, exec_lo, s47
.LBB56_54:                              ;   in Loop: Header=BB56_4 Depth=1
	s_mov_b32 s47, 0
.LBB56_55:                              ;   in Loop: Header=BB56_4 Depth=1
	s_delay_alu instid0(SALU_CYCLE_1)
	s_and_not1_b32 vcc_lo, exec_lo, s47
	s_cbranch_vccnz .LBB56_62
; %bb.56:                               ;   in Loop: Header=BB56_4 Depth=1
	s_and_saveexec_b32 s47, s0
	s_cbranch_execz .LBB56_61
; %bb.57:                               ;   in Loop: Header=BB56_4 Depth=1
	v_mov_b32_e32 v24, v0
	s_lshl_b64 s[64:65], s[28:29], 3
	s_mov_b32 s70, 0
	s_add_nc_u64 s[64:65], s[56:57], s[64:65]
	s_branch .LBB56_59
.LBB56_58:                              ;   in Loop: Header=BB56_59 Depth=2
	v_ashrrev_i32_e32 v25, 31, v24
	v_add_nc_u64_e32 v[22:23], s[40:41], v[22:23]
	s_delay_alu instid0(VALU_DEP_2)
	v_lshl_add_u64 v[28:29], v[24:25], 3, s[64:65]
	s_wait_xcnt 0x0
	v_add_nc_u32_e32 v24, s12, v24
	s_wait_loadcnt 0x0
	global_store_b64 v[28:29], v[26:27], off
	v_cmp_le_i32_e32 vcc_lo, s15, v24
	s_or_b32 s70, vcc_lo, s70
	s_wait_xcnt 0x0
	s_and_not1_b32 exec_lo, exec_lo, s70
	s_cbranch_execz .LBB56_61
.LBB56_59:                              ;   Parent Loop BB56_4 Depth=1
                                        ; =>  This Loop Header: Depth=2
                                        ;       Child Loop BB56_60 Depth 3
	global_load_b64 v[26:27], v24, s[56:57] scale_offset
	v_mov_b64_e32 v[28:29], v[22:23]
	s_and_not1_b32 vcc_lo, exec_lo, s87
	s_mov_b64 s[66:67], s[54:55]
	s_mov_b64 s[68:69], s[52:53]
	s_mov_b32 s71, s26
	s_cbranch_vccnz .LBB56_58
.LBB56_60:                              ;   Parent Loop BB56_4 Depth=1
                                        ;     Parent Loop BB56_59 Depth=2
                                        ; =>    This Inner Loop Header: Depth=3
	s_delay_alu instid0(VALU_DEP_1)
	v_add_nc_u64_e32 v[30:31], s[42:43], v[28:29]
	s_add_co_i32 s71, s71, -1
	global_load_b64 v[32:33], v[30:31], off
	s_clause 0x1
	global_load_b32 v34, v1, s[66:67]
	global_load_b32 v36, v1, s[68:69]
	s_wait_xcnt 0x0
	s_add_nc_u64 s[68:69], s[68:69], 4
	s_cmp_eq_u32 s71, 0
	s_add_nc_u64 s[66:67], s[66:67], 4
	s_wait_loadcnt 0x1
	v_pk_mul_f32 v[38:39], v[34:35], v[32:33] op_sel_hi:[0,1]
	v_pk_mul_f32 v[34:35], v[26:27], v[34:35] op_sel_hi:[1,0]
	s_wait_loadcnt 0x0
	s_delay_alu instid0(VALU_DEP_2) | instskip(NEXT) | instid1(VALU_DEP_2)
	v_pk_fma_f32 v[38:39], v[26:27], v[36:37], v[38:39] op_sel_hi:[1,0,1]
	v_pk_fma_f32 v[26:27], v[36:37], v[32:33], v[34:35] op_sel_hi:[0,1,1] neg_lo:[0,0,1] neg_hi:[0,0,1]
	global_store_b64 v[28:29], v[38:39], off
	s_wait_xcnt 0x0
	v_mov_b64_e32 v[28:29], v[30:31]
	s_cbranch_scc0 .LBB56_60
	s_branch .LBB56_58
.LBB56_61:                              ;   in Loop: Header=BB56_4 Depth=1
	s_or_b32 exec_lo, exec_lo, s47
.LBB56_62:                              ;   in Loop: Header=BB56_4 Depth=1
	s_mov_b32 s47, 0
.LBB56_63:                              ;   in Loop: Header=BB56_4 Depth=1
	s_delay_alu instid0(SALU_CYCLE_1)
	s_and_not1_b32 vcc_lo, exec_lo, s47
	s_cbranch_vccnz .LBB56_70
; %bb.64:                               ;   in Loop: Header=BB56_4 Depth=1
	s_and_saveexec_b32 s47, s1
	s_cbranch_execz .LBB56_69
; %bb.65:                               ;   in Loop: Header=BB56_4 Depth=1
	v_add_nc_u64_e32 v[22:23], s[62:63], v[12:13]
	v_mov_b32_e32 v24, v0
	s_lshl_b64 s[64:65], s[30:31], 3
	s_mov_b32 s70, 0
	s_add_nc_u64 s[64:65], s[56:57], s[64:65]
	s_branch .LBB56_67
.LBB56_66:                              ;   in Loop: Header=BB56_67 Depth=2
	v_add_nc_u32_e32 v24, s12, v24
	v_add_nc_u64_e32 v[22:23], s[50:51], v[22:23]
	s_wait_loadcnt 0x0
	global_store_b64 v[26:27], v[28:29], off offset:-8
	v_cmp_le_i32_e32 vcc_lo, s23, v24
	s_or_b32 s70, vcc_lo, s70
	s_wait_xcnt 0x0
	s_and_not1_b32 exec_lo, exec_lo, s70
	s_cbranch_execz .LBB56_69
.LBB56_67:                              ;   Parent Loop BB56_4 Depth=1
                                        ; =>  This Loop Header: Depth=2
                                        ;       Child Loop BB56_68 Depth 3
	v_ashrrev_i32_e32 v25, 31, v24
	v_mov_b64_e32 v[30:31], v[22:23]
	s_and_not1_b32 vcc_lo, exec_lo, s88
	s_mov_b64 s[66:67], s[60:61]
	s_mov_b64 s[68:69], s[58:59]
	v_mul_u64_e32 v[26:27], s[20:21], v[24:25]
	s_mov_b32 s71, s46
	s_delay_alu instid0(VALU_DEP_1)
	v_lshl_add_u64 v[26:27], v[26:27], 3, s[64:65]
	global_load_b64 v[28:29], v[26:27], off offset:-8
	s_cbranch_vccnz .LBB56_66
.LBB56_68:                              ;   Parent Loop BB56_4 Depth=1
                                        ;     Parent Loop BB56_67 Depth=2
                                        ; =>    This Inner Loop Header: Depth=3
	global_load_b64 v[32:33], v[30:31], off
	s_clause 0x1
	global_load_b32 v34, v1, s[68:69]
	global_load_b32 v36, v1, s[66:67]
	s_add_co_i32 s71, s71, -1
	s_wait_xcnt 0x1
	s_add_nc_u64 s[68:69], s[68:69], -4
	s_cmp_eq_u32 s71, 0
	s_wait_xcnt 0x0
	s_add_nc_u64 s[66:67], s[66:67], -4
	s_wait_loadcnt 0x1
	v_pk_mul_f32 v[38:39], v[34:35], v[32:33] op_sel_hi:[0,1]
	s_wait_loadcnt 0x0
	v_pk_mul_f32 v[32:33], v[36:37], v[32:33] op_sel_hi:[0,1]
	s_delay_alu instid0(VALU_DEP_2) | instskip(NEXT) | instid1(VALU_DEP_2)
	v_pk_fma_f32 v[38:39], v[28:29], v[36:37], v[38:39] op_sel_hi:[1,0,1]
	v_pk_fma_f32 v[28:29], v[28:29], v[34:35], v[32:33] op_sel_hi:[1,0,1] neg_lo:[0,0,1] neg_hi:[0,0,1]
	global_store_b64 v[30:31], v[38:39], off
	s_wait_xcnt 0x0
	v_add_nc_u64_e32 v[30:31], -8, v[30:31]
	s_cbranch_scc0 .LBB56_68
	s_branch .LBB56_66
.LBB56_69:                              ;   in Loop: Header=BB56_4 Depth=1
	s_or_b32 exec_lo, exec_lo, s47
.LBB56_70:                              ;   in Loop: Header=BB56_4 Depth=1
	s_mov_b32 s47, 0
.LBB56_71:                              ;   in Loop: Header=BB56_4 Depth=1
	s_delay_alu instid0(SALU_CYCLE_1)
	s_and_not1_b32 vcc_lo, exec_lo, s47
	s_cbranch_vccnz .LBB56_78
; %bb.72:                               ;   in Loop: Header=BB56_4 Depth=1
	s_and_saveexec_b32 s47, s1
	s_cbranch_execz .LBB56_77
; %bb.73:                               ;   in Loop: Header=BB56_4 Depth=1
	v_add_nc_u64_e32 v[22:23], s[62:63], v[10:11]
	v_mov_b32_e32 v24, v0
	s_lshl_b64 s[64:65], s[30:31], 3
	s_mov_b32 s70, 0
	s_add_nc_u64 s[64:65], s[56:57], s[64:65]
	s_branch .LBB56_75
.LBB56_74:                              ;   in Loop: Header=BB56_75 Depth=2
	v_add_nc_u32_e32 v24, s12, v24
	v_add_nc_u64_e32 v[22:23], s[50:51], v[22:23]
	s_wait_loadcnt 0x0
	global_store_b64 v[26:27], v[28:29], off offset:-8
	v_cmp_le_i32_e32 vcc_lo, s23, v24
	s_or_b32 s70, vcc_lo, s70
	s_wait_xcnt 0x0
	s_and_not1_b32 exec_lo, exec_lo, s70
	s_cbranch_execz .LBB56_77
.LBB56_75:                              ;   Parent Loop BB56_4 Depth=1
                                        ; =>  This Loop Header: Depth=2
                                        ;       Child Loop BB56_76 Depth 3
	v_ashrrev_i32_e32 v25, 31, v24
	v_mov_b64_e32 v[30:31], v[22:23]
	s_and_not1_b32 vcc_lo, exec_lo, s88
	s_mov_b64 s[66:67], s[54:55]
	s_mov_b64 s[68:69], s[52:53]
	v_mul_u64_e32 v[26:27], s[20:21], v[24:25]
	s_mov_b32 s71, s46
	s_delay_alu instid0(VALU_DEP_1)
	v_lshl_add_u64 v[26:27], v[26:27], 3, s[64:65]
	global_load_b64 v[28:29], v[26:27], off offset:-8
	s_cbranch_vccnz .LBB56_74
.LBB56_76:                              ;   Parent Loop BB56_4 Depth=1
                                        ;     Parent Loop BB56_75 Depth=2
                                        ; =>    This Inner Loop Header: Depth=3
	global_load_b64 v[32:33], v[30:31], off
	s_clause 0x1
	global_load_b32 v34, v1, s[68:69]
	global_load_b32 v36, v1, s[66:67]
	s_add_co_i32 s71, s71, -1
	s_wait_xcnt 0x1
	s_add_nc_u64 s[68:69], s[68:69], 4
	s_cmp_eq_u32 s71, 0
	s_wait_xcnt 0x0
	s_add_nc_u64 s[66:67], s[66:67], 4
	s_wait_loadcnt 0x1
	v_pk_mul_f32 v[38:39], v[34:35], v[32:33] op_sel_hi:[0,1]
	s_wait_loadcnt 0x0
	v_pk_mul_f32 v[32:33], v[36:37], v[32:33] op_sel_hi:[0,1]
	s_delay_alu instid0(VALU_DEP_2) | instskip(NEXT) | instid1(VALU_DEP_2)
	v_pk_fma_f32 v[38:39], v[28:29], v[36:37], v[38:39] op_sel_hi:[1,0,1]
	v_pk_fma_f32 v[28:29], v[28:29], v[34:35], v[32:33] op_sel_hi:[1,0,1] neg_lo:[0,0,1] neg_hi:[0,0,1]
	global_store_b64 v[30:31], v[38:39], off
	s_wait_xcnt 0x0
	v_add_nc_u64_e32 v[30:31], 8, v[30:31]
	s_cbranch_scc0 .LBB56_76
	s_branch .LBB56_74
.LBB56_77:                              ;   in Loop: Header=BB56_4 Depth=1
	s_or_b32 exec_lo, exec_lo, s47
.LBB56_78:                              ;   in Loop: Header=BB56_4 Depth=1
	s_mov_b32 s47, 0
.LBB56_79:                              ;   in Loop: Header=BB56_4 Depth=1
	s_delay_alu instid0(SALU_CYCLE_1)
	s_and_not1_b32 vcc_lo, exec_lo, s47
	s_cbranch_vccnz .LBB56_86
; %bb.80:                               ;   in Loop: Header=BB56_4 Depth=1
	s_and_saveexec_b32 s47, s1
	s_cbranch_execz .LBB56_85
; %bb.81:                               ;   in Loop: Header=BB56_4 Depth=1
	v_add_nc_u64_e32 v[22:23], s[62:63], v[14:15]
	v_mov_b32_e32 v24, v0
	s_mov_b32 s68, 0
	s_branch .LBB56_83
.LBB56_82:                              ;   in Loop: Header=BB56_83 Depth=2
	v_add_nc_u32_e32 v24, s12, v24
	v_add_nc_u64_e32 v[22:23], s[50:51], v[22:23]
	s_wait_loadcnt 0x0
	global_store_b64 v[26:27], v[28:29], off
	v_cmp_le_i32_e32 vcc_lo, s23, v24
	s_or_b32 s68, vcc_lo, s68
	s_wait_xcnt 0x0
	s_and_not1_b32 exec_lo, exec_lo, s68
	s_cbranch_execz .LBB56_85
.LBB56_83:                              ;   Parent Loop BB56_4 Depth=1
                                        ; =>  This Loop Header: Depth=2
                                        ;       Child Loop BB56_84 Depth 3
	s_delay_alu instid0(VALU_DEP_1) | instskip(NEXT) | instid1(VALU_DEP_3)
	v_ashrrev_i32_e32 v25, 31, v24
	v_mov_b64_e32 v[30:31], v[22:23]
	s_and_not1_b32 vcc_lo, exec_lo, s88
	s_mov_b64 s[64:65], s[60:61]
	s_mov_b64 s[66:67], s[58:59]
	v_mul_u64_e32 v[26:27], s[20:21], v[24:25]
	s_mov_b32 s69, s13
	s_delay_alu instid0(VALU_DEP_1)
	v_lshl_add_u64 v[26:27], v[26:27], 3, s[56:57]
	global_load_b64 v[28:29], v[26:27], off
	s_cbranch_vccnz .LBB56_82
.LBB56_84:                              ;   Parent Loop BB56_4 Depth=1
                                        ;     Parent Loop BB56_83 Depth=2
                                        ; =>    This Inner Loop Header: Depth=3
	s_clause 0x1
	global_load_b32 v32, v1, s[64:65]
	global_load_b32 v34, v1, s[66:67]
	global_load_b64 v[36:37], v[30:31], off
	s_add_co_i32 s69, s69, -1
	s_wait_xcnt 0x1
	s_add_nc_u64 s[66:67], s[66:67], -4
	s_cmp_lt_u32 s69, 3
	s_add_nc_u64 s[64:65], s[64:65], -4
	s_wait_loadcnt 0x2
	v_pk_mul_f32 v[38:39], v[28:29], v[32:33] op_sel_hi:[1,0]
	s_wait_loadcnt 0x0
	v_pk_mul_f32 v[32:33], v[32:33], v[36:37] op_sel_hi:[0,1]
	s_delay_alu instid0(VALU_DEP_2) | instskip(NEXT) | instid1(VALU_DEP_2)
	v_pk_fma_f32 v[38:39], v[34:35], v[36:37], v[38:39] op_sel_hi:[0,1,1] neg_lo:[0,0,1] neg_hi:[0,0,1]
	v_pk_fma_f32 v[28:29], v[28:29], v[34:35], v[32:33] op_sel_hi:[1,0,1]
	global_store_b64 v[30:31], v[38:39], off
	s_wait_xcnt 0x0
	v_add_nc_u64_e32 v[30:31], -8, v[30:31]
	s_cbranch_scc0 .LBB56_84
	s_branch .LBB56_82
.LBB56_85:                              ;   in Loop: Header=BB56_4 Depth=1
	s_or_b32 exec_lo, exec_lo, s47
.LBB56_86:                              ;   in Loop: Header=BB56_4 Depth=1
	s_mov_b32 s47, 0
.LBB56_87:                              ;   in Loop: Header=BB56_4 Depth=1
	s_delay_alu instid0(SALU_CYCLE_1)
	s_and_not1_b32 vcc_lo, exec_lo, s47
	s_cbranch_vccnz .LBB56_94
; %bb.88:                               ;   in Loop: Header=BB56_4 Depth=1
	s_and_saveexec_b32 s47, s1
	s_cbranch_execz .LBB56_93
; %bb.89:                               ;   in Loop: Header=BB56_4 Depth=1
	v_mov_b64_e32 v[22:23], v[20:21]
	v_mov_b32_e32 v24, v0
	s_mov_b32 s68, 0
	s_branch .LBB56_91
.LBB56_90:                              ;   in Loop: Header=BB56_91 Depth=2
	v_add_nc_u32_e32 v24, s12, v24
	v_add_nc_u64_e32 v[22:23], s[50:51], v[22:23]
	s_wait_loadcnt 0x0
	global_store_b64 v[26:27], v[28:29], off
	v_cmp_le_i32_e32 vcc_lo, s23, v24
	s_or_b32 s68, vcc_lo, s68
	s_wait_xcnt 0x0
	s_and_not1_b32 exec_lo, exec_lo, s68
	s_cbranch_execz .LBB56_93
.LBB56_91:                              ;   Parent Loop BB56_4 Depth=1
                                        ; =>  This Loop Header: Depth=2
                                        ;       Child Loop BB56_92 Depth 3
	s_delay_alu instid0(VALU_DEP_1) | instskip(NEXT) | instid1(VALU_DEP_3)
	v_ashrrev_i32_e32 v25, 31, v24
	v_mov_b64_e32 v[30:31], v[22:23]
	s_and_not1_b32 vcc_lo, exec_lo, s88
	s_mov_b32 s69, s46
	s_mov_b64 s[64:65], s[52:53]
	v_mul_u64_e32 v[26:27], s[20:21], v[24:25]
	s_mov_b64 s[66:67], s[54:55]
	s_delay_alu instid0(VALU_DEP_1)
	v_lshl_add_u64 v[26:27], v[26:27], 3, s[56:57]
	global_load_b64 v[28:29], v[26:27], off
	s_cbranch_vccnz .LBB56_90
.LBB56_92:                              ;   Parent Loop BB56_4 Depth=1
                                        ;     Parent Loop BB56_91 Depth=2
                                        ; =>    This Inner Loop Header: Depth=3
	s_clause 0x1
	global_load_b32 v32, v1, s[66:67]
	global_load_b32 v34, v1, s[64:65]
	global_load_b64 v[36:37], v[30:31], off
	s_add_co_i32 s69, s69, -1
	s_wait_xcnt 0x2
	s_add_nc_u64 s[66:67], s[66:67], 4
	s_cmp_eq_u32 s69, 0
	s_wait_xcnt 0x1
	s_add_nc_u64 s[64:65], s[64:65], 4
	s_wait_loadcnt 0x2
	v_pk_mul_f32 v[38:39], v[28:29], v[32:33] op_sel_hi:[1,0]
	s_wait_loadcnt 0x0
	v_pk_mul_f32 v[32:33], v[32:33], v[36:37] op_sel_hi:[0,1]
	s_delay_alu instid0(VALU_DEP_2) | instskip(NEXT) | instid1(VALU_DEP_2)
	v_pk_fma_f32 v[38:39], v[34:35], v[36:37], v[38:39] op_sel_hi:[0,1,1] neg_lo:[0,0,1] neg_hi:[0,0,1]
	v_pk_fma_f32 v[28:29], v[28:29], v[34:35], v[32:33] op_sel_hi:[1,0,1]
	global_store_b64 v[30:31], v[38:39], off
	s_wait_xcnt 0x0
	v_add_nc_u64_e32 v[30:31], 8, v[30:31]
	s_cbranch_scc0 .LBB56_92
	s_branch .LBB56_90
.LBB56_93:                              ;   in Loop: Header=BB56_4 Depth=1
	s_or_b32 exec_lo, exec_lo, s47
.LBB56_94:                              ;   in Loop: Header=BB56_4 Depth=1
	s_mov_b32 s47, 0
.LBB56_95:                              ;   in Loop: Header=BB56_4 Depth=1
	s_delay_alu instid0(SALU_CYCLE_1)
	s_and_not1_b32 vcc_lo, exec_lo, s47
	s_cbranch_vccnz .LBB56_102
; %bb.96:                               ;   in Loop: Header=BB56_4 Depth=1
	s_and_saveexec_b32 s47, s1
	s_cbranch_execz .LBB56_101
; %bb.97:                               ;   in Loop: Header=BB56_4 Depth=1
	v_add_nc_u64_e32 v[22:23], s[62:63], v[18:19]
	v_mov_b32_e32 v24, v0
	s_lshl_b64 s[62:63], s[30:31], 3
	s_mov_b32 s68, 0
	s_add_nc_u64 s[62:63], s[56:57], s[62:63]
	s_branch .LBB56_99
.LBB56_98:                              ;   in Loop: Header=BB56_99 Depth=2
	v_add_nc_u32_e32 v24, s12, v24
	v_add_nc_u64_e32 v[22:23], s[50:51], v[22:23]
	v_lshl_add_u64 v[26:27], v[26:27], 3, s[56:57]
	s_delay_alu instid0(VALU_DEP_3)
	v_cmp_le_i32_e32 vcc_lo, s23, v24
	s_wait_loadcnt 0x0
	global_store_b64 v[26:27], v[28:29], off
	s_or_b32 s68, vcc_lo, s68
	s_wait_xcnt 0x0
	s_and_not1_b32 exec_lo, exec_lo, s68
	s_cbranch_execz .LBB56_101
.LBB56_99:                              ;   Parent Loop BB56_4 Depth=1
                                        ; =>  This Loop Header: Depth=2
                                        ;       Child Loop BB56_100 Depth 3
	v_ashrrev_i32_e32 v25, 31, v24
	v_mov_b64_e32 v[30:31], v[22:23]
	s_and_not1_b32 vcc_lo, exec_lo, s88
	s_mov_b64 s[64:65], s[60:61]
	s_mov_b64 s[66:67], s[58:59]
	v_mul_u64_e32 v[26:27], s[20:21], v[24:25]
	s_mov_b32 s69, s46
	s_delay_alu instid0(VALU_DEP_1)
	v_lshl_add_u64 v[28:29], v[26:27], 3, s[62:63]
	global_load_b64 v[28:29], v[28:29], off offset:-8
	s_cbranch_vccnz .LBB56_98
.LBB56_100:                             ;   Parent Loop BB56_4 Depth=1
                                        ;     Parent Loop BB56_99 Depth=2
                                        ; =>    This Inner Loop Header: Depth=3
	global_load_b64 v[32:33], v[30:31], off offset:-8
	s_clause 0x1
	global_load_b32 v34, v1, s[64:65]
	global_load_b32 v36, v1, s[66:67]
	v_add_nc_u64_e32 v[40:41], -8, v[30:31]
	s_add_co_i32 s69, s69, -1
	s_wait_xcnt 0x0
	s_add_nc_u64 s[66:67], s[66:67], -4
	s_cmp_eq_u32 s69, 0
	s_add_nc_u64 s[64:65], s[64:65], -4
	s_wait_loadcnt 0x1
	v_pk_mul_f32 v[38:39], v[34:35], v[32:33] op_sel_hi:[0,1]
	s_wait_loadcnt 0x0
	v_pk_mul_f32 v[32:33], v[36:37], v[32:33] op_sel_hi:[0,1]
	s_delay_alu instid0(VALU_DEP_2) | instskip(NEXT) | instid1(VALU_DEP_2)
	v_pk_fma_f32 v[36:37], v[28:29], v[36:37], v[38:39] op_sel_hi:[1,0,1] neg_lo:[0,0,1] neg_hi:[0,0,1]
	v_pk_fma_f32 v[28:29], v[28:29], v[34:35], v[32:33] op_sel_hi:[1,0,1]
	global_store_b64 v[30:31], v[36:37], off
	s_wait_xcnt 0x0
	v_mov_b64_e32 v[30:31], v[40:41]
	s_cbranch_scc0 .LBB56_100
	s_branch .LBB56_98
.LBB56_101:                             ;   in Loop: Header=BB56_4 Depth=1
	s_or_b32 exec_lo, exec_lo, s47
.LBB56_102:                             ;   in Loop: Header=BB56_4 Depth=1
	s_cbranch_execnz .LBB56_3
.LBB56_103:                             ;   in Loop: Header=BB56_4 Depth=1
	s_and_saveexec_b32 s47, s1
	s_cbranch_execz .LBB56_2
; %bb.104:                              ;   in Loop: Header=BB56_4 Depth=1
	v_mov_b32_e32 v22, v0
	s_lshl_b64 s[58:59], s[30:31], 3
	s_mov_b32 s64, 0
	s_add_nc_u64 s[58:59], s[56:57], s[58:59]
	s_branch .LBB56_106
.LBB56_105:                             ;   in Loop: Header=BB56_106 Depth=2
	v_add_nc_u32_e32 v22, s12, v22
	v_add_nc_u64_e32 v[20:21], s[50:51], v[20:21]
	v_lshl_add_u64 v[24:25], v[24:25], 3, s[58:59]
	s_delay_alu instid0(VALU_DEP_3)
	v_cmp_le_i32_e32 vcc_lo, s23, v22
	s_wait_loadcnt 0x0
	global_store_b64 v[24:25], v[26:27], off offset:-8
	s_or_b32 s64, vcc_lo, s64
	s_wait_xcnt 0x0
	s_and_not1_b32 exec_lo, exec_lo, s64
	s_cbranch_execz .LBB56_2
.LBB56_106:                             ;   Parent Loop BB56_4 Depth=1
                                        ; =>  This Loop Header: Depth=2
                                        ;       Child Loop BB56_107 Depth 3
	v_ashrrev_i32_e32 v23, 31, v22
	v_mov_b64_e32 v[28:29], v[20:21]
	s_and_not1_b32 vcc_lo, exec_lo, s88
	s_mov_b64 s[60:61], s[54:55]
	s_mov_b64 s[62:63], s[52:53]
	v_mul_u64_e32 v[24:25], s[20:21], v[22:23]
	s_mov_b32 s65, s46
	s_delay_alu instid0(VALU_DEP_1)
	v_lshl_add_u64 v[26:27], v[24:25], 3, s[56:57]
	global_load_b64 v[26:27], v[26:27], off
	s_cbranch_vccnz .LBB56_105
.LBB56_107:                             ;   Parent Loop BB56_4 Depth=1
                                        ;     Parent Loop BB56_106 Depth=2
                                        ; =>    This Inner Loop Header: Depth=3
	global_load_b64 v[30:31], v[28:29], off
	s_clause 0x1
	global_load_b32 v32, v1, s[60:61]
	global_load_b32 v34, v1, s[62:63]
	s_add_co_i32 s65, s65, -1
	s_wait_xcnt 0x0
	s_add_nc_u64 s[62:63], s[62:63], 4
	s_cmp_eq_u32 s65, 0
	s_add_nc_u64 s[60:61], s[60:61], 4
	s_wait_loadcnt 0x1
	v_pk_mul_f32 v[36:37], v[32:33], v[30:31] op_sel_hi:[0,1]
	s_wait_loadcnt 0x0
	s_delay_alu instid0(VALU_DEP_1)
	v_pk_fma_f32 v[36:37], v[26:27], v[34:35], v[36:37] op_sel_hi:[1,0,1]
	v_pk_mul_f32 v[26:27], v[26:27], v[32:33] op_sel_hi:[1,0]
	global_store_b64 v[28:29], v[36:37], off offset:-8
	s_wait_xcnt 0x0
	v_add_nc_u64_e32 v[28:29], 8, v[28:29]
	v_pk_fma_f32 v[26:27], v[34:35], v[30:31], v[26:27] op_sel_hi:[0,1,1] neg_lo:[0,0,1] neg_hi:[0,0,1]
	s_cbranch_scc0 .LBB56_107
	s_branch .LBB56_105
.LBB56_108:
	s_endpgm
	.section	.rodata,"a",@progbits
	.p2align	6, 0x0
	.amdhsa_kernel _ZN9rocsolver6v33100L11lasr_kernelI19rocblas_complex_numIfEfPS3_iEEv13rocblas_side_14rocblas_pivot_15rocblas_direct_T2_S8_PT0_lSA_lT1_lS8_lS8_
		.amdhsa_group_segment_fixed_size 0
		.amdhsa_private_segment_fixed_size 0
		.amdhsa_kernarg_size 352
		.amdhsa_user_sgpr_count 2
		.amdhsa_user_sgpr_dispatch_ptr 0
		.amdhsa_user_sgpr_queue_ptr 0
		.amdhsa_user_sgpr_kernarg_segment_ptr 1
		.amdhsa_user_sgpr_dispatch_id 0
		.amdhsa_user_sgpr_kernarg_preload_length 0
		.amdhsa_user_sgpr_kernarg_preload_offset 0
		.amdhsa_user_sgpr_private_segment_size 0
		.amdhsa_wavefront_size32 1
		.amdhsa_uses_dynamic_stack 0
		.amdhsa_enable_private_segment 0
		.amdhsa_system_sgpr_workgroup_id_x 1
		.amdhsa_system_sgpr_workgroup_id_y 0
		.amdhsa_system_sgpr_workgroup_id_z 1
		.amdhsa_system_sgpr_workgroup_info 0
		.amdhsa_system_vgpr_workitem_id 0
		.amdhsa_next_free_vgpr 44
		.amdhsa_next_free_sgpr 91
		.amdhsa_named_barrier_count 0
		.amdhsa_reserve_vcc 1
		.amdhsa_float_round_mode_32 0
		.amdhsa_float_round_mode_16_64 0
		.amdhsa_float_denorm_mode_32 3
		.amdhsa_float_denorm_mode_16_64 3
		.amdhsa_fp16_overflow 0
		.amdhsa_memory_ordered 1
		.amdhsa_forward_progress 1
		.amdhsa_inst_pref_size 34
		.amdhsa_round_robin_scheduling 0
		.amdhsa_exception_fp_ieee_invalid_op 0
		.amdhsa_exception_fp_denorm_src 0
		.amdhsa_exception_fp_ieee_div_zero 0
		.amdhsa_exception_fp_ieee_overflow 0
		.amdhsa_exception_fp_ieee_underflow 0
		.amdhsa_exception_fp_ieee_inexact 0
		.amdhsa_exception_int_div_zero 0
	.end_amdhsa_kernel
	.section	.text._ZN9rocsolver6v33100L11lasr_kernelI19rocblas_complex_numIfEfPS3_iEEv13rocblas_side_14rocblas_pivot_15rocblas_direct_T2_S8_PT0_lSA_lT1_lS8_lS8_,"axG",@progbits,_ZN9rocsolver6v33100L11lasr_kernelI19rocblas_complex_numIfEfPS3_iEEv13rocblas_side_14rocblas_pivot_15rocblas_direct_T2_S8_PT0_lSA_lT1_lS8_lS8_,comdat
.Lfunc_end56:
	.size	_ZN9rocsolver6v33100L11lasr_kernelI19rocblas_complex_numIfEfPS3_iEEv13rocblas_side_14rocblas_pivot_15rocblas_direct_T2_S8_PT0_lSA_lT1_lS8_lS8_, .Lfunc_end56-_ZN9rocsolver6v33100L11lasr_kernelI19rocblas_complex_numIfEfPS3_iEEv13rocblas_side_14rocblas_pivot_15rocblas_direct_T2_S8_PT0_lSA_lT1_lS8_lS8_
                                        ; -- End function
	.set _ZN9rocsolver6v33100L11lasr_kernelI19rocblas_complex_numIfEfPS3_iEEv13rocblas_side_14rocblas_pivot_15rocblas_direct_T2_S8_PT0_lSA_lT1_lS8_lS8_.num_vgpr, 44
	.set _ZN9rocsolver6v33100L11lasr_kernelI19rocblas_complex_numIfEfPS3_iEEv13rocblas_side_14rocblas_pivot_15rocblas_direct_T2_S8_PT0_lSA_lT1_lS8_lS8_.num_agpr, 0
	.set _ZN9rocsolver6v33100L11lasr_kernelI19rocblas_complex_numIfEfPS3_iEEv13rocblas_side_14rocblas_pivot_15rocblas_direct_T2_S8_PT0_lSA_lT1_lS8_lS8_.numbered_sgpr, 91
	.set _ZN9rocsolver6v33100L11lasr_kernelI19rocblas_complex_numIfEfPS3_iEEv13rocblas_side_14rocblas_pivot_15rocblas_direct_T2_S8_PT0_lSA_lT1_lS8_lS8_.num_named_barrier, 0
	.set _ZN9rocsolver6v33100L11lasr_kernelI19rocblas_complex_numIfEfPS3_iEEv13rocblas_side_14rocblas_pivot_15rocblas_direct_T2_S8_PT0_lSA_lT1_lS8_lS8_.private_seg_size, 0
	.set _ZN9rocsolver6v33100L11lasr_kernelI19rocblas_complex_numIfEfPS3_iEEv13rocblas_side_14rocblas_pivot_15rocblas_direct_T2_S8_PT0_lSA_lT1_lS8_lS8_.uses_vcc, 1
	.set _ZN9rocsolver6v33100L11lasr_kernelI19rocblas_complex_numIfEfPS3_iEEv13rocblas_side_14rocblas_pivot_15rocblas_direct_T2_S8_PT0_lSA_lT1_lS8_lS8_.uses_flat_scratch, 0
	.set _ZN9rocsolver6v33100L11lasr_kernelI19rocblas_complex_numIfEfPS3_iEEv13rocblas_side_14rocblas_pivot_15rocblas_direct_T2_S8_PT0_lSA_lT1_lS8_lS8_.has_dyn_sized_stack, 0
	.set _ZN9rocsolver6v33100L11lasr_kernelI19rocblas_complex_numIfEfPS3_iEEv13rocblas_side_14rocblas_pivot_15rocblas_direct_T2_S8_PT0_lSA_lT1_lS8_lS8_.has_recursion, 0
	.set _ZN9rocsolver6v33100L11lasr_kernelI19rocblas_complex_numIfEfPS3_iEEv13rocblas_side_14rocblas_pivot_15rocblas_direct_T2_S8_PT0_lSA_lT1_lS8_lS8_.has_indirect_call, 0
	.section	.AMDGPU.csdata,"",@progbits
; Kernel info:
; codeLenInByte = 4292
; TotalNumSgprs: 93
; NumVgprs: 44
; ScratchSize: 0
; MemoryBound: 0
; FloatMode: 240
; IeeeMode: 1
; LDSByteSize: 0 bytes/workgroup (compile time only)
; SGPRBlocks: 0
; VGPRBlocks: 2
; NumSGPRsForWavesPerEU: 93
; NumVGPRsForWavesPerEU: 44
; NamedBarCnt: 0
; Occupancy: 16
; WaveLimiterHint : 0
; COMPUTE_PGM_RSRC2:SCRATCH_EN: 0
; COMPUTE_PGM_RSRC2:USER_SGPR: 2
; COMPUTE_PGM_RSRC2:TRAP_HANDLER: 0
; COMPUTE_PGM_RSRC2:TGID_X_EN: 1
; COMPUTE_PGM_RSRC2:TGID_Y_EN: 0
; COMPUTE_PGM_RSRC2:TGID_Z_EN: 1
; COMPUTE_PGM_RSRC2:TIDIG_COMP_CNT: 0
	.section	.text._ZN9rocsolver6v33100L11swap_kernelI19rocblas_complex_numIfEiEEvT0_PT_S4_S6_S4_,"axG",@progbits,_ZN9rocsolver6v33100L11swap_kernelI19rocblas_complex_numIfEiEEvT0_PT_S4_S6_S4_,comdat
	.globl	_ZN9rocsolver6v33100L11swap_kernelI19rocblas_complex_numIfEiEEvT0_PT_S4_S6_S4_ ; -- Begin function _ZN9rocsolver6v33100L11swap_kernelI19rocblas_complex_numIfEiEEvT0_PT_S4_S6_S4_
	.p2align	8
	.type	_ZN9rocsolver6v33100L11swap_kernelI19rocblas_complex_numIfEiEEvT0_PT_S4_S6_S4_,@function
_ZN9rocsolver6v33100L11swap_kernelI19rocblas_complex_numIfEiEEvT0_PT_S4_S6_S4_: ; @_ZN9rocsolver6v33100L11swap_kernelI19rocblas_complex_numIfEiEEvT0_PT_S4_S6_S4_
; %bb.0:
	s_load_b32 s12, s[0:1], 0x0
	s_wait_kmcnt 0x0
	s_cmp_lt_i32 s12, 1
	s_cbranch_scc1 .LBB57_10
; %bb.1:
	s_clause 0x2
	s_load_b32 s2, s[0:1], 0x34
	s_load_b96 s[4:6], s[0:1], 0x8
	s_load_b96 s[8:10], s[0:1], 0x18
	s_bfe_u32 s3, ttmp6, 0x4000c
	s_wait_xcnt 0x0
	s_load_b32 s0, s[0:1], 0x28
	s_add_co_i32 s3, s3, 1
	s_wait_xcnt 0x0
	s_and_b32 s1, ttmp6, 15
	s_mul_i32 s3, ttmp9, s3
	s_getreg_b32 s7, hwreg(HW_REG_IB_STS2, 6, 4)
	s_add_co_i32 s1, s1, s3
	s_wait_kmcnt 0x0
	s_and_b32 s2, s2, 0xffff
	s_cmp_eq_u32 s7, 0
	s_cselect_b32 s1, ttmp9, s1
	s_cmp_eq_u32 s6, 1
	v_mad_u32 v0, s1, s2, v0
	s_cselect_b32 s1, -1, 0
	s_cmp_eq_u32 s10, 1
	s_mul_i32 s2, s0, s2
	s_cselect_b32 s3, -1, 0
	s_delay_alu instid0(SALU_CYCLE_1) | instskip(NEXT) | instid1(SALU_CYCLE_1)
	s_and_b32 s1, s1, s3
	s_and_b32 vcc_lo, exec_lo, s1
	s_mov_b32 s1, -1
	s_delay_alu instid0(VALU_DEP_1)
	v_cmp_gt_i32_e64 s0, s12, v0
	s_cbranch_vccnz .LBB57_6
; %bb.2:
	s_and_saveexec_b32 s1, s0
	s_cbranch_execz .LBB57_5
; %bb.3:
	v_ashrrev_i32_e32 v1, 31, v0
	s_ashr_i32 s7, s6, 31
	s_ashr_i32 s11, s10, 31
	;; [unrolled: 1-line block ×3, first 2 shown]
	s_delay_alu instid0(SALU_CYCLE_1)
	s_mul_u64 s[14:15], s[6:7], s[2:3]
	v_mul_u64_e32 v[2:3], s[10:11], v[0:1]
	v_mul_u64_e32 v[4:5], s[6:7], v[0:1]
	v_mov_b32_e32 v1, v0
	s_mul_u64 s[10:11], s[10:11], s[2:3]
	s_mov_b32 s3, 0
	s_lshl_b64 s[6:7], s[10:11], 3
	s_lshl_b64 s[10:11], s[14:15], 3
	s_delay_alu instid0(VALU_DEP_3) | instskip(NEXT) | instid1(VALU_DEP_3)
	v_lshl_add_u64 v[2:3], v[2:3], 3, s[8:9]
	v_lshl_add_u64 v[4:5], v[4:5], 3, s[4:5]
.LBB57_4:                               ; =>This Inner Loop Header: Depth=1
	global_load_b64 v[6:7], v[4:5], off
	global_load_b64 v[8:9], v[2:3], off
	v_add_nc_u32_e32 v1, s2, v1
	s_wait_loadcnt 0x1
	global_store_b64 v[2:3], v[6:7], off
	s_wait_loadcnt 0x0
	global_store_b64 v[4:5], v[8:9], off
	v_cmp_le_i32_e32 vcc_lo, s12, v1
	s_wait_xcnt 0x1
	v_add_nc_u64_e32 v[2:3], s[6:7], v[2:3]
	s_wait_xcnt 0x0
	v_add_nc_u64_e32 v[4:5], s[10:11], v[4:5]
	s_or_b32 s3, vcc_lo, s3
	s_delay_alu instid0(SALU_CYCLE_1)
	s_and_not1_b32 exec_lo, exec_lo, s3
	s_cbranch_execnz .LBB57_4
.LBB57_5:
	s_or_b32 exec_lo, exec_lo, s1
	s_mov_b32 s1, 0
.LBB57_6:
	s_delay_alu instid0(SALU_CYCLE_1)
	s_and_not1_b32 vcc_lo, exec_lo, s1
	s_cbranch_vccnz .LBB57_10
; %bb.7:
	s_and_saveexec_b32 s1, s0
	s_cbranch_execz .LBB57_10
; %bb.8:
	v_ashrrev_i32_e32 v1, 31, v0
	s_ashr_i32 s3, s2, 31
	s_delay_alu instid0(SALU_CYCLE_1) | instskip(SKIP_1) | instid1(VALU_DEP_1)
	s_lshl_b64 s[0:1], s[2:3], 3
	s_mov_b32 s3, 0
	v_lshlrev_b64_e32 v[2:3], 3, v[0:1]
.LBB57_9:                               ; =>This Inner Loop Header: Depth=1
	s_delay_alu instid0(VALU_DEP_1)
	v_add_nc_u64_e32 v[4:5], s[4:5], v[2:3]
	v_add_nc_u64_e32 v[6:7], s[8:9], v[2:3]
	v_add_nc_u32_e32 v0, s2, v0
	v_add_nc_u64_e32 v[2:3], s[0:1], v[2:3]
	global_load_b64 v[8:9], v[4:5], off
	global_load_b64 v[10:11], v[6:7], off
	v_cmp_le_i32_e32 vcc_lo, s12, v0
	s_wait_loadcnt 0x1
	global_store_b64 v[6:7], v[8:9], off
	s_wait_loadcnt 0x0
	global_store_b64 v[4:5], v[10:11], off
	s_or_b32 s3, vcc_lo, s3
	s_wait_xcnt 0x0
	s_and_not1_b32 exec_lo, exec_lo, s3
	s_cbranch_execnz .LBB57_9
.LBB57_10:
	s_endpgm
	.section	.rodata,"a",@progbits
	.p2align	6, 0x0
	.amdhsa_kernel _ZN9rocsolver6v33100L11swap_kernelI19rocblas_complex_numIfEiEEvT0_PT_S4_S6_S4_
		.amdhsa_group_segment_fixed_size 0
		.amdhsa_private_segment_fixed_size 0
		.amdhsa_kernarg_size 296
		.amdhsa_user_sgpr_count 2
		.amdhsa_user_sgpr_dispatch_ptr 0
		.amdhsa_user_sgpr_queue_ptr 0
		.amdhsa_user_sgpr_kernarg_segment_ptr 1
		.amdhsa_user_sgpr_dispatch_id 0
		.amdhsa_user_sgpr_kernarg_preload_length 0
		.amdhsa_user_sgpr_kernarg_preload_offset 0
		.amdhsa_user_sgpr_private_segment_size 0
		.amdhsa_wavefront_size32 1
		.amdhsa_uses_dynamic_stack 0
		.amdhsa_enable_private_segment 0
		.amdhsa_system_sgpr_workgroup_id_x 1
		.amdhsa_system_sgpr_workgroup_id_y 0
		.amdhsa_system_sgpr_workgroup_id_z 0
		.amdhsa_system_sgpr_workgroup_info 0
		.amdhsa_system_vgpr_workitem_id 0
		.amdhsa_next_free_vgpr 12
		.amdhsa_next_free_sgpr 16
		.amdhsa_named_barrier_count 0
		.amdhsa_reserve_vcc 1
		.amdhsa_float_round_mode_32 0
		.amdhsa_float_round_mode_16_64 0
		.amdhsa_float_denorm_mode_32 3
		.amdhsa_float_denorm_mode_16_64 3
		.amdhsa_fp16_overflow 0
		.amdhsa_memory_ordered 1
		.amdhsa_forward_progress 1
		.amdhsa_inst_pref_size 4
		.amdhsa_round_robin_scheduling 0
		.amdhsa_exception_fp_ieee_invalid_op 0
		.amdhsa_exception_fp_denorm_src 0
		.amdhsa_exception_fp_ieee_div_zero 0
		.amdhsa_exception_fp_ieee_overflow 0
		.amdhsa_exception_fp_ieee_underflow 0
		.amdhsa_exception_fp_ieee_inexact 0
		.amdhsa_exception_int_div_zero 0
	.end_amdhsa_kernel
	.section	.text._ZN9rocsolver6v33100L11swap_kernelI19rocblas_complex_numIfEiEEvT0_PT_S4_S6_S4_,"axG",@progbits,_ZN9rocsolver6v33100L11swap_kernelI19rocblas_complex_numIfEiEEvT0_PT_S4_S6_S4_,comdat
.Lfunc_end57:
	.size	_ZN9rocsolver6v33100L11swap_kernelI19rocblas_complex_numIfEiEEvT0_PT_S4_S6_S4_, .Lfunc_end57-_ZN9rocsolver6v33100L11swap_kernelI19rocblas_complex_numIfEiEEvT0_PT_S4_S6_S4_
                                        ; -- End function
	.set _ZN9rocsolver6v33100L11swap_kernelI19rocblas_complex_numIfEiEEvT0_PT_S4_S6_S4_.num_vgpr, 12
	.set _ZN9rocsolver6v33100L11swap_kernelI19rocblas_complex_numIfEiEEvT0_PT_S4_S6_S4_.num_agpr, 0
	.set _ZN9rocsolver6v33100L11swap_kernelI19rocblas_complex_numIfEiEEvT0_PT_S4_S6_S4_.numbered_sgpr, 16
	.set _ZN9rocsolver6v33100L11swap_kernelI19rocblas_complex_numIfEiEEvT0_PT_S4_S6_S4_.num_named_barrier, 0
	.set _ZN9rocsolver6v33100L11swap_kernelI19rocblas_complex_numIfEiEEvT0_PT_S4_S6_S4_.private_seg_size, 0
	.set _ZN9rocsolver6v33100L11swap_kernelI19rocblas_complex_numIfEiEEvT0_PT_S4_S6_S4_.uses_vcc, 1
	.set _ZN9rocsolver6v33100L11swap_kernelI19rocblas_complex_numIfEiEEvT0_PT_S4_S6_S4_.uses_flat_scratch, 0
	.set _ZN9rocsolver6v33100L11swap_kernelI19rocblas_complex_numIfEiEEvT0_PT_S4_S6_S4_.has_dyn_sized_stack, 0
	.set _ZN9rocsolver6v33100L11swap_kernelI19rocblas_complex_numIfEiEEvT0_PT_S4_S6_S4_.has_recursion, 0
	.set _ZN9rocsolver6v33100L11swap_kernelI19rocblas_complex_numIfEiEEvT0_PT_S4_S6_S4_.has_indirect_call, 0
	.section	.AMDGPU.csdata,"",@progbits
; Kernel info:
; codeLenInByte = 500
; TotalNumSgprs: 18
; NumVgprs: 12
; ScratchSize: 0
; MemoryBound: 0
; FloatMode: 240
; IeeeMode: 1
; LDSByteSize: 0 bytes/workgroup (compile time only)
; SGPRBlocks: 0
; VGPRBlocks: 0
; NumSGPRsForWavesPerEU: 18
; NumVGPRsForWavesPerEU: 12
; NamedBarCnt: 0
; Occupancy: 16
; WaveLimiterHint : 0
; COMPUTE_PGM_RSRC2:SCRATCH_EN: 0
; COMPUTE_PGM_RSRC2:USER_SGPR: 2
; COMPUTE_PGM_RSRC2:TRAP_HANDLER: 0
; COMPUTE_PGM_RSRC2:TGID_X_EN: 1
; COMPUTE_PGM_RSRC2:TGID_Y_EN: 0
; COMPUTE_PGM_RSRC2:TGID_Z_EN: 0
; COMPUTE_PGM_RSRC2:TIDIG_COMP_CNT: 0
	.section	.text._ZN9rocsolver6v33100L12steqr_kernelI19rocblas_complex_numIfEfPS3_EEviPT0_lS6_lT1_iilPiS6_iS5_S5_S5_,"axG",@progbits,_ZN9rocsolver6v33100L12steqr_kernelI19rocblas_complex_numIfEfPS3_EEviPT0_lS6_lT1_iilPiS6_iS5_S5_S5_,comdat
	.globl	_ZN9rocsolver6v33100L12steqr_kernelI19rocblas_complex_numIfEfPS3_EEviPT0_lS6_lT1_iilPiS6_iS5_S5_S5_ ; -- Begin function _ZN9rocsolver6v33100L12steqr_kernelI19rocblas_complex_numIfEfPS3_EEviPT0_lS6_lT1_iilPiS6_iS5_S5_S5_
	.p2align	8
	.type	_ZN9rocsolver6v33100L12steqr_kernelI19rocblas_complex_numIfEfPS3_EEviPT0_lS6_lT1_iilPiS6_iS5_S5_S5_,@function
_ZN9rocsolver6v33100L12steqr_kernelI19rocblas_complex_numIfEfPS3_EEviPT0_lS6_lT1_iilPiS6_iS5_S5_S5_: ; @_ZN9rocsolver6v33100L12steqr_kernelI19rocblas_complex_numIfEfPS3_EEviPT0_lS6_lT1_iilPiS6_iS5_S5_S5_
; %bb.0:
	s_clause 0x1
	s_load_b32 s2, s[0:1], 0x6c
	s_load_b32 s3, s[0:1], 0x60
	s_bfe_u32 s4, ttmp6, 0x4000c
	s_and_b32 s5, ttmp6, 15
	s_add_co_i32 s6, s4, 1
	s_getreg_b32 s4, hwreg(HW_REG_IB_STS2, 6, 4)
	s_mul_i32 s6, ttmp9, s6
	s_delay_alu instid0(SALU_CYCLE_1) | instskip(SKIP_4) | instid1(SALU_CYCLE_1)
	s_add_co_i32 s5, s5, s6
	s_wait_kmcnt 0x0
	s_and_b32 s7, s2, 0xffff
	s_cmp_eq_u32 s4, 0
	s_cselect_b32 s2, ttmp9, s5
	v_mad_u32 v0, s2, s7, v0
	s_delay_alu instid0(VALU_DEP_1)
	v_cmp_eq_u32_e64 s2, 0, v0
	s_and_saveexec_b32 s5, s2
; %bb.1:
	v_mov_b32_e32 v1, 0
	ds_store_2addr_b32 v1, v1, v1 offset0:3 offset1:7
; %bb.2:
	s_or_b32 exec_lo, exec_lo, s5
	v_mov_b32_e32 v48, 0
	s_load_b32 s6, s[0:1], 0x0
	s_wait_dscnt 0x0
	s_barrier_signal -1
	s_barrier_wait -1
	ds_load_2addr_b32 v[2:3], v48 offset0:3 offset1:7
	s_clause 0x1
	s_load_b128 s[24:27], s[0:1], 0x50
	s_load_b256 s[16:23], s[0:1], 0x8
	s_bfe_u32 s5, ttmp6, 0x40010
	s_bfe_u32 s28, ttmp6, 0x40004
	s_add_co_i32 s5, s5, 1
	s_load_b256 s[8:15], s[0:1], 0x28
	s_mul_i32 s5, ttmp7, s5
	s_mul_i32 s30, s3, s7
	s_add_co_i32 s28, s28, s5
	s_cmp_eq_u32 s4, 0
	s_load_b64 s[4:5], s[0:1], 0x48
	s_cselect_b32 s36, ttmp7, s28
	s_delay_alu instid0(SALU_CYCLE_1)
	s_ashr_i32 s37, s36, 31
	s_wait_kmcnt 0x0
	s_add_co_i32 s34, s6, -1
	s_wait_dscnt 0x0
	v_cmp_gt_i32_e32 vcc_lo, s6, v2
	v_cmp_gt_i32_e64 s0, s24, v3
	s_mul_u64 s[18:19], s[18:19], s[36:37]
	v_readfirstlane_b32 s70, v2
	s_lshl_b64 s[28:29], s[18:19], 2
	s_mul_u64 s[38:39], s[22:23], s[36:37]
	s_and_b32 s0, vcc_lo, s0
	s_add_nc_u64 s[18:19], s[16:17], s[28:29]
	s_ashr_i32 s23, s10, 31
	s_mov_b32 s22, s10
	s_mul_u64 s[12:13], s[12:13], s[36:37]
	s_and_not1_b32 vcc_lo, exec_lo, s0
	s_cbranch_vccnz .LBB58_229
; %bb.3:
	s_lshl_b32 s0, s6, 1
	s_ashr_i32 s7, s6, 31
	s_ashr_i32 s1, s0, 31
	s_lshl_b64 s[62:63], s[6:7], 2
	s_mul_u64 s[0:1], s[0:1], s[36:37]
	s_lshl_b64 s[58:59], s[12:13], 3
	s_lshl_b64 s[52:53], s[0:1], 2
	;; [unrolled: 1-line block ×3, first 2 shown]
	s_add_nc_u64 s[44:45], s[4:5], s[52:53]
	s_add_nc_u64 s[52:53], s[52:53], s[62:63]
	v_dual_ashrrev_i32 v1, 31, v0 :: v_dual_mov_b32 v7, 2.0
	s_add_nc_u64 s[4:5], s[4:5], s[52:53]
	v_mov_b64_e32 v[4:5], 0xbf0000003f000000
	s_add_nc_u64 s[54:55], s[4:5], -8
	s_add_nc_u64 s[4:5], s[58:59], s[60:61]
	s_lshl_b64 s[40:41], s[38:39], 2
	s_add_nc_u64 s[4:5], s[8:9], s[4:5]
	s_add_nc_u64 s[42:43], s[8:9], s[58:59]
	s_ashr_i32 s47, s11, 31
	s_mov_b32 s46, s11
	v_cmp_gt_i32_e64 s0, s6, v0
	v_lshl_add_u64 v[2:3], v[0:1], 3, s[4:5]
	s_add_nc_u64 s[40:41], s[20:21], s[40:41]
	s_add_nc_u64 s[42:43], s[42:43], s[60:61]
	s_mul_f32 s10, s25, s25
	s_add_nc_u64 s[48:49], s[16:17], s[28:29]
	s_ashr_i32 s31, s30, 31
	s_add_nc_u64 s[60:61], s[62:63], -4
	s_lshl_b64 s[62:63], s[46:47], 3
	s_add_nc_u64 s[50:51], s[48:49], 4
	s_lshl_b64 s[52:53], s[30:31], 2
	s_add_nc_u64 s[56:57], s[44:45], -4
	s_add_nc_u64 s[58:59], s[40:41], -4
	s_lshl_b64 s[64:65], s[30:31], 3
	s_sub_nc_u64 s[66:67], 0, s[62:63]
	s_add_nc_u64 s[68:69], s[48:49], -4
	s_mov_b32 s5, 0
                                        ; implicit-def: $vgpr50
                                        ; implicit-def: $vgpr16_vgpr17
                                        ; implicit-def: $vgpr18_vgpr19
                                        ; implicit-def: $vgpr20_vgpr21
                                        ; implicit-def: $vgpr8_vgpr9
                                        ; implicit-def: $vgpr49
                                        ; implicit-def: $vgpr14_vgpr15
                                        ; implicit-def: $vgpr1
                                        ; implicit-def: $vgpr10_vgpr11
                                        ; implicit-def: $vgpr12_vgpr13
	s_branch .LBB58_7
.LBB58_4:                               ;   in Loop: Header=BB58_7 Depth=1
	s_or_b32 exec_lo, exec_lo, s1
.LBB58_5:                               ;   in Loop: Header=BB58_7 Depth=1
	s_wait_storecnt 0x0
	s_barrier_signal -1
	s_barrier_wait -1
.LBB58_6:                               ;   in Loop: Header=BB58_7 Depth=1
	ds_load_2addr_b32 v[22:23], v48 offset0:3 offset1:7
	s_wait_dscnt 0x0
	v_cmp_gt_i32_e32 vcc_lo, s6, v22
	v_cmp_gt_i32_e64 s1, s24, v23
	v_readfirstlane_b32 s70, v22
	s_and_b32 s1, vcc_lo, s1
	s_delay_alu instid0(SALU_CYCLE_1)
	s_and_not1_b32 vcc_lo, exec_lo, s1
	s_cbranch_vccnz .LBB58_229
.LBB58_7:                               ; =>This Loop Header: Depth=1
                                        ;     Child Loop BB58_15 Depth 2
                                        ;     Child Loop BB58_29 Depth 2
	;; [unrolled: 1-line block ×6, first 2 shown]
                                        ;       Child Loop BB58_159 Depth 3
                                        ;       Child Loop BB58_179 Depth 3
	;; [unrolled: 1-line block ×3, first 2 shown]
                                        ;         Child Loop BB58_227 Depth 4
                                        ;     Child Loop BB58_74 Depth 2
                                        ;       Child Loop BB58_81 Depth 3
                                        ;       Child Loop BB58_101 Depth 3
	;; [unrolled: 1-line block ×3, first 2 shown]
                                        ;         Child Loop BB58_149 Depth 4
                                        ;     Child Loop BB58_64 Depth 2
                                        ;     Child Loop BB58_71 Depth 2
	s_and_saveexec_b32 s3, s2
	s_cbranch_execz .LBB58_37
; %bb.8:                                ;   in Loop: Header=BB58_7 Depth=1
	s_cmp_lt_i32 s70, 1
	s_cbranch_scc1 .LBB58_10
; %bb.9:                                ;   in Loop: Header=BB58_7 Depth=1
	v_mov_b32_e32 v6, s70
	global_store_b32 v6, v48, s[40:41] offset:-4 scale_offset
.LBB58_10:                              ;   in Loop: Header=BB58_7 Depth=1
	s_mov_b32 s31, -1
	s_mov_b32 s4, 0
	s_cmp_lt_i32 s70, s34
	s_mov_b32 s1, 0
	s_cbranch_scc1 .LBB58_12
; %bb.11:                               ;   in Loop: Header=BB58_7 Depth=1
	s_ashr_i32 s71, s70, 31
	s_mov_b32 s31, 0
	s_mov_b32 s1, -1
.LBB58_12:                              ;   in Loop: Header=BB58_7 Depth=1
	s_and_not1_b32 vcc_lo, exec_lo, s31
	s_cbranch_vccnz .LBB58_17
; %bb.13:                               ;   in Loop: Header=BB58_7 Depth=1
	s_ashr_i32 s71, s70, 31
	s_delay_alu instid0(SALU_CYCLE_1)
	s_lshl_b64 s[72:73], s[70:71], 2
	s_mov_b64 s[76:77], s[70:71]
	s_add_nc_u64 s[80:81], s[40:41], s[72:73]
	s_add_nc_u64 s[74:75], s[50:51], s[72:73]
	s_branch .LBB58_15
.LBB58_14:                              ;   in Loop: Header=BB58_15 Depth=2
	s_and_not1_b32 vcc_lo, exec_lo, s31
	s_cbranch_vccz .LBB58_18
.LBB58_15:                              ;   Parent Loop BB58_7 Depth=1
                                        ; =>  This Inner Loop Header: Depth=2
	s_clause 0x1
	global_load_b64 v[16:17], v48, s[74:75] offset:-4
	global_load_b32 v6, v48, s[80:81]
	s_mov_b64 s[72:73], s[80:81]
	s_wait_loadcnt 0x1
	v_readfirstlane_b32 s4, v17
	s_wait_loadcnt 0x0
	v_and_b32_e32 v6, 0x7fffffff, v6
	s_bitset0_b32 s4, 31
	s_delay_alu instid0(SALU_CYCLE_1) | instskip(SKIP_1) | instid1(SALU_CYCLE_2)
	s_mul_f32 s31, s4, 0x4f800000
	s_cmp_lt_f32 s4, 0xf800000
	s_cselect_b32 s31, s31, s4
	s_delay_alu instid0(SALU_CYCLE_1) | instskip(SKIP_1) | instid1(TRANS32_DEP_1)
	v_s_sqrt_f32 s33, s31
	s_mov_b32 s78, s31
	s_add_co_i32 s35, s33, -1
	s_delay_alu instid0(SALU_CYCLE_1) | instskip(NEXT) | instid1(SALU_CYCLE_1)
	s_xor_b32 s79, s35, 0x80000000
	s_fmac_f32 s78, s79, s33
	s_mov_b32 s79, s31
	s_delay_alu instid0(SALU_CYCLE_2) | instskip(SKIP_4) | instid1(SALU_CYCLE_1)
	s_cmp_le_f32 s78, 0
	s_cselect_b32 s35, s35, s33
	s_add_co_i32 s78, s33, 1
	s_wait_xcnt 0x0
	s_xor_b32 s80, s78, 0x80000000
	s_fmac_f32 s79, s80, s33
	v_readfirstlane_b32 s33, v16
	s_delay_alu instid0(SALU_CYCLE_2) | instskip(SKIP_3) | instid1(SALU_CYCLE_3)
	s_cmp_gt_f32 s79, 0
	s_cselect_b32 s35, s78, s35
	s_cmp_lt_f32 s4, 0xf800000
	s_mul_f32 s4, s35, 0x37800000
	s_cselect_b32 s4, s4, s35
	s_bitset0_b32 s33, 31
	s_delay_alu instid0(SALU_CYCLE_1) | instskip(SKIP_1) | instid1(SALU_CYCLE_2)
	s_mul_f32 s35, s33, 0x4f800000
	s_cmp_lt_f32 s33, 0xf800000
	s_cselect_b32 s35, s35, s33
	s_delay_alu instid0(SALU_CYCLE_1) | instskip(SKIP_1) | instid1(TRANS32_DEP_1)
	v_s_sqrt_f32 s78, s35
	s_mov_b32 s80, s35
	s_add_co_i32 s79, s78, -1
	s_delay_alu instid0(SALU_CYCLE_1) | instskip(NEXT) | instid1(SALU_CYCLE_1)
	s_xor_b32 s81, s79, 0x80000000
	s_fmac_f32 s80, s81, s78
	s_mov_b32 s81, s35
	s_delay_alu instid0(SALU_CYCLE_2) | instskip(SKIP_2) | instid1(SALU_CYCLE_1)
	s_cmp_le_f32 s80, 0
	s_cselect_b32 s79, s79, s78
	s_add_co_i32 s80, s78, 1
	s_xor_b32 s82, s80, 0x80000000
	s_delay_alu instid0(SALU_CYCLE_1) | instskip(SKIP_1) | instid1(SALU_CYCLE_2)
	s_fmac_f32 s81, s82, s78
	v_cmp_class_f32_e64 s78, s35, 0x260
	s_cmp_gt_f32 s81, 0
	s_cselect_b32 s79, s80, s79
	s_cmp_lt_f32 s33, 0xf800000
	s_mul_f32 s33, s79, 0x37800000
	v_cmp_class_f32_e64 s80, s31, 0x260
	s_delay_alu instid0(SALU_CYCLE_2)
	s_cselect_b32 s33, s33, s79
	s_and_b32 s78, s78, exec_lo
	s_cselect_b32 s33, s35, s33
	s_and_b32 s35, s80, exec_lo
	s_cselect_b32 s4, s31, s4
	s_mov_b64 s[78:79], s[76:77]
	s_mul_f32 s4, s33, s4
	s_mov_b32 s31, -1
                                        ; implicit-def: $sgpr76_sgpr77
                                        ; implicit-def: $sgpr80_sgpr81
	s_delay_alu instid0(SALU_CYCLE_2) | instskip(NEXT) | instid1(SALU_CYCLE_3)
	s_mul_f32 s4, s25, s4
	v_cmp_nge_f32_e32 vcc_lo, s4, v6
	s_mov_b32 s4, -1
	s_cbranch_vccz .LBB58_14
; %bb.16:                               ;   in Loop: Header=BB58_15 Depth=2
	s_add_nc_u64 s[76:77], s[78:79], 1
	s_add_nc_u64 s[80:81], s[72:73], 4
	s_cmp_ge_i32 s76, s34
	s_add_nc_u64 s[74:75], s[74:75], 4
	s_mov_b32 s4, 0
	s_cselect_b32 s31, -1, 0
	s_branch .LBB58_14
.LBB58_17:                              ;   in Loop: Header=BB58_7 Depth=1
	s_mov_b32 s31, s70
	s_mov_b64 s[74:75], s[70:71]
	s_and_b32 vcc_lo, exec_lo, s1
	s_cbranch_vccnz .LBB58_21
	s_branch .LBB58_22
.LBB58_18:                              ;   in Loop: Header=BB58_7 Depth=1
	s_xor_b32 s4, s4, -1
                                        ; implicit-def: $sgpr74_sgpr75
	s_delay_alu instid0(SALU_CYCLE_1)
	s_and_b32 vcc_lo, exec_lo, s4
	s_mov_b32 s4, -1
	s_cbranch_vccz .LBB58_20
; %bb.19:                               ;   in Loop: Header=BB58_7 Depth=1
	s_ashr_i32 s35, s34, 31
	s_mov_b32 s1, -1
	s_mov_b32 s4, 0
	s_mov_b64 s[74:75], s[34:35]
.LBB58_20:                              ;   in Loop: Header=BB58_7 Depth=1
	v_mov_b64_e32 v[16:17], s[78:79]
	v_mov_b64_e32 v[18:19], s[72:73]
	v_mov_b64_e32 v[20:21], s[70:71]
	v_mov_b32_e32 v50, s78
	s_mov_b32 s31, s34
	s_and_b32 vcc_lo, exec_lo, s1
	s_cbranch_vccz .LBB58_22
.LBB58_21:                              ;   in Loop: Header=BB58_7 Depth=1
	s_wait_xcnt 0x0
	v_mov_b32_e32 v6, s31
	ds_store_b32 v48, v6 offset:4
.LBB58_22:                              ;   in Loop: Header=BB58_7 Depth=1
	v_mov_b64_e32 v[22:23], s[70:71]
	v_mov_b64_e32 v[24:25], s[74:75]
	s_wait_xcnt 0x0
	v_mov_b32_e32 v6, s31
	s_and_not1_b32 vcc_lo, exec_lo, s4
	s_cbranch_vccnz .LBB58_24
; %bb.23:                               ;   in Loop: Header=BB58_7 Depth=1
	v_mov_b64_e32 v[22:23], v[20:21]
	v_mov_b64_e32 v[24:25], v[16:17]
	v_mov_b32_e32 v6, v50
	ds_store_b32 v48, v50 offset:4
	global_store_b32 v[18:19], v48, off
.LBB58_24:                              ;   in Loop: Header=BB58_7 Depth=1
	s_delay_alu instid0(VALU_DEP_2)
	v_lshl_add_u64 v[24:25], v[24:25], 2, s[18:19]
	v_lshl_add_u64 v[26:27], v[22:23], 2, s[18:19]
	s_mov_b32 s1, exec_lo
	s_clause 0x1
	global_load_b32 v22, v[24:25], off
	global_load_b32 v23, v[26:27], off
	s_wait_xcnt 0x1
	v_dual_mov_b32 v24, s70 :: v_dual_add_nc_u32 v25, 1, v6
	s_wait_xcnt 0x0
	v_mov_b32_e32 v26, s70
	ds_store_2addr_b32 v48, v24, v6 offset1:5
	ds_store_b32 v48, v6 offset:32
	ds_store_2addr_b32 v48, v25, v26 offset0:3 offset1:4
	s_wait_loadcnt 0x0
	v_cmpx_lt_f32_e64 |v22|, |v23|
; %bb.25:                               ;   in Loop: Header=BB58_7 Depth=1
	v_mov_b32_e32 v23, s70
	ds_store_2addr_b32 v48, v6, v23 offset1:5
; %bb.26:                               ;   in Loop: Header=BB58_7 Depth=1
	s_or_b32 exec_lo, exec_lo, s1
	v_and_b32_e32 v28, 0x7fffffff, v22
	s_mov_b32 s4, exec_lo
	v_cmpx_lt_i32_e64 s70, v6
	s_cbranch_execz .LBB58_36
; %bb.27:                               ;   in Loop: Header=BB58_7 Depth=1
	v_subrev_nc_u32_e32 v23, s70, v6
	v_mov_b32_e32 v22, s70
	s_mov_b32 s33, -1
	s_mov_b32 s31, exec_lo
	s_delay_alu instid0(VALU_DEP_2)
	v_cmpx_lt_u32_e32 1, v23
	s_cbranch_execz .LBB58_31
; %bb.28:                               ;   in Loop: Header=BB58_7 Depth=1
	v_dual_mov_b32 v27, v28 :: v_dual_bitop2_b32 v22, -2, v23 bitop3:0x40
	s_mov_b32 s35, 0
	s_mov_b32 s1, 0
                                        ; implicit-def: $sgpr33
	s_delay_alu instid0(VALU_DEP_1)
	v_add_nc_u32_e32 v24, -2, v22
.LBB58_29:                              ;   Parent Loop BB58_7 Depth=1
                                        ; =>  This Inner Loop Header: Depth=2
	s_add_co_i32 s72, s70, s1
	v_dual_mov_b32 v26, v27 :: v_dual_mov_b32 v25, v28
	s_ashr_i32 s73, s72, 31
	s_add_co_i32 s71, s1, 2
	s_lshl_b64 s[72:73], s[72:73], 2
	v_cmp_eq_u32_e32 vcc_lo, s1, v24
	s_add_nc_u64 s[74:75], s[40:41], s[72:73]
	s_add_nc_u64 s[72:73], s[18:19], s[72:73]
	s_clause 0x1
	global_load_b64 v[30:31], v48, s[74:75]
	global_load_b64 v[32:33], v48, s[72:73]
	v_dual_mov_b32 v29, s1 :: v_dual_max_num_f32 v27, v26, v26
	s_wait_loadcnt 0x1
	v_max_num_f32_e64 v31, |v31|, |v31|
	s_wait_loadcnt 0x0
	v_max_num_f32_e64 v33, |v33|, |v33|
	v_max_num_f32_e64 v30, |v30|, |v30|
	;; [unrolled: 1-line block ×3, first 2 shown]
	s_delay_alu instid0(VALU_DEP_1) | instskip(NEXT) | instid1(VALU_DEP_1)
	v_dual_max_num_f32 v28, v25, v25 :: v_dual_max_num_f32 v30, v32, v30
	v_dual_max_num_f32 v31, v33, v31 :: v_dual_max_num_f32 v28, v28, v30
	s_delay_alu instid0(VALU_DEP_1) | instskip(SKIP_1) | instid1(VALU_DEP_2)
	v_cmp_u_f32_e64 s1, v31, v31
	v_max_num_f32_e32 v27, v27, v31
	v_cndmask_b32_e64 v32, 0, 1, s1
	v_cmp_u_f32_e64 s1, v30, v30
	s_delay_alu instid0(VALU_DEP_1) | instskip(NEXT) | instid1(VALU_DEP_3)
	v_cndmask_b32_e64 v33, 0, 1, s1
	v_readfirstlane_b32 s1, v32
	s_wait_xcnt 0x0
	s_delay_alu instid0(VALU_DEP_2) | instskip(SKIP_1) | instid1(SALU_CYCLE_1)
	v_readfirstlane_b32 s72, v33
	s_lshl_b32 s1, s1, 1
	s_or_b32 s1, s72, s1
	s_delay_alu instid0(SALU_CYCLE_1) | instskip(NEXT) | instid1(SALU_CYCLE_1)
	s_and_b32 s1, s1, 3
	s_cmp_lg_u32 s1, 0
	s_cselect_b32 s1, -1, 0
	s_delay_alu instid0(SALU_CYCLE_1) | instskip(NEXT) | instid1(SALU_CYCLE_1)
	s_or_b32 s72, s1, vcc_lo
	s_and_b32 s72, exec_lo, s72
	s_delay_alu instid0(SALU_CYCLE_1)
	s_or_b32 s35, s72, s35
	s_and_not1_b32 s33, s33, exec_lo
	s_and_b32 s72, s1, exec_lo
	s_mov_b32 s1, s71
	s_or_b32 s33, s33, s72
	s_and_not1_b32 exec_lo, exec_lo, s35
	s_cbranch_execnz .LBB58_29
; %bb.30:                               ;   in Loop: Header=BB58_7 Depth=1
	s_or_b32 exec_lo, exec_lo, s35
	v_dual_cndmask_b32 v24, v27, v26, s33 :: v_dual_cndmask_b32 v25, v28, v25, s33
	v_cmp_ne_u32_e32 vcc_lo, v23, v22
	s_delay_alu instid0(VALU_DEP_2) | instskip(SKIP_2) | instid1(SALU_CYCLE_1)
	v_dual_max_num_f32 v24, v24, v24 :: v_dual_max_num_f32 v25, v25, v25
	v_cndmask_b32_e64 v26, v22, v29, s33
	s_or_b32 s1, vcc_lo, s33
	s_or_not1_b32 s33, s1, exec_lo
	s_delay_alu instid0(VALU_DEP_1)
	v_dual_max_num_f32 v28, v25, v24 :: v_dual_add_nc_u32 v22, s70, v26
.LBB58_31:                              ;   in Loop: Header=BB58_7 Depth=1
	s_or_b32 exec_lo, exec_lo, s31
	s_and_saveexec_b32 s1, s33
	s_cbranch_execz .LBB58_35
; %bb.32:                               ;   in Loop: Header=BB58_7 Depth=1
	s_delay_alu instid0(VALU_DEP_1) | instskip(SKIP_1) | instid1(VALU_DEP_1)
	v_ashrrev_i32_e32 v23, 31, v22
	s_mov_b32 s31, 0
	v_lshlrev_b64_e32 v[26:27], 2, v[22:23]
	s_delay_alu instid0(VALU_DEP_1)
	v_add_nc_u64_e32 v[24:25], s[48:49], v[26:27]
	v_add_nc_u64_e32 v[26:27], s[40:41], v[26:27]
.LBB58_33:                              ;   Parent Loop BB58_7 Depth=1
                                        ; =>  This Inner Loop Header: Depth=2
	global_load_b32 v23, v[24:25], off
	global_load_b32 v29, v[26:27], off
	v_add_nc_u32_e32 v22, 1, v22
	s_wait_xcnt 0x1
	v_add_nc_u64_e32 v[24:25], 4, v[24:25]
	s_wait_xcnt 0x0
	v_add_nc_u64_e32 v[26:27], 4, v[26:27]
	v_cmp_ge_i32_e32 vcc_lo, v22, v6
	s_or_b32 s31, vcc_lo, s31
	s_wait_loadcnt 0x0
	v_max3_num_f32 v28, v28, |v23|, |v29|
	s_and_not1_b32 exec_lo, exec_lo, s31
	s_cbranch_execnz .LBB58_33
; %bb.34:                               ;   in Loop: Header=BB58_7 Depth=1
	s_or_b32 exec_lo, exec_lo, s31
.LBB58_35:                              ;   in Loop: Header=BB58_7 Depth=1
	s_delay_alu instid0(SALU_CYCLE_1)
	s_or_b32 exec_lo, exec_lo, s1
.LBB58_36:                              ;   in Loop: Header=BB58_7 Depth=1
	s_delay_alu instid0(SALU_CYCLE_1)
	s_or_b32 exec_lo, exec_lo, s4
	ds_store_b32 v48, v28 offset:24
.LBB58_37:                              ;   in Loop: Header=BB58_7 Depth=1
	s_or_b32 exec_lo, exec_lo, s3
	s_wait_storecnt_dscnt 0x0
	s_barrier_signal -1
	s_barrier_wait -1
	ds_load_2addr_b32 v[22:23], v48 offset0:5 offset1:6
	ds_load_b32 v6, v48
	s_wait_dscnt 0x1
	v_readfirstlane_b32 s1, v23
	v_readfirstlane_b32 s3, v22
	s_cmp_eq_f32 s1, 0
	s_wait_dscnt 0x0
	v_cmp_eq_u32_e32 vcc_lo, s3, v6
	s_cselect_b32 s3, -1, 0
	s_delay_alu instid0(SALU_CYCLE_1) | instskip(NEXT) | instid1(SALU_CYCLE_1)
	s_or_b32 s3, vcc_lo, s3
	s_and_b32 vcc_lo, exec_lo, s3
	s_cbranch_vccnz .LBB58_6
; %bb.38:                               ;   in Loop: Header=BB58_7 Depth=1
	s_cmp_ngt_f32 s1, s27
	s_mov_b32 s3, -1
	s_cbranch_scc0 .LBB58_47
; %bb.39:                               ;   in Loop: Header=BB58_7 Depth=1
	s_cmp_nlt_f32 s1, s26
	s_cbranch_scc1 .LBB58_46
; %bb.40:                               ;   in Loop: Header=BB58_7 Depth=1
	v_div_scale_f32 v6, null, s26, s26, s1
	v_div_scale_f32 v25, vcc_lo, s1, s26, s1
	s_delay_alu instid0(VALU_DEP_2)
	v_rcp_f32_e32 v24, v6
	v_nop
	v_xor_b32_e32 v6, 0x80000000, v6
	s_delay_alu instid0(TRANS32_DEP_1) | instid1(VALU_DEP_1)
	v_fma_f32 v22, v6, v24, 1.0
	s_delay_alu instid0(VALU_DEP_1) | instskip(SKIP_2) | instid1(VALU_DEP_1)
	v_fmac_f32_e32 v24, v22, v24
	ds_load_2addr_b32 v[22:23], v48 offset0:4 offset1:8
	v_mul_f32_e32 v26, v25, v24
	v_fma_f32 v27, v6, v26, v25
	s_delay_alu instid0(VALU_DEP_1) | instskip(NEXT) | instid1(VALU_DEP_1)
	v_fmac_f32_e32 v26, v27, v24
	v_fmac_f32_e32 v25, v6, v26
	s_delay_alu instid0(VALU_DEP_1) | instskip(NEXT) | instid1(VALU_DEP_1)
	v_div_fmas_f32 v6, v25, v24, v26
	v_div_fixup_f32 v6, v6, s26, s1
	s_and_saveexec_b32 s3, s2
	s_cbranch_execz .LBB58_42
; %bb.41:                               ;   in Loop: Header=BB58_7 Depth=1
	s_wait_dscnt 0x0
	global_load_b32 v24, v23, s[18:19] scale_offset
	s_wait_loadcnt 0x0
	v_mul_f32_e32 v24, v6, v24
	global_store_b32 v23, v24, s[18:19] scale_offset
.LBB58_42:                              ;   in Loop: Header=BB58_7 Depth=1
	s_wait_xcnt 0x0
	s_or_b32 exec_lo, exec_lo, s3
	s_wait_dscnt 0x0
	v_add_nc_u32_e32 v24, v22, v0
	s_mov_b32 s3, exec_lo
	s_delay_alu instid0(VALU_DEP_1)
	v_cmpx_lt_i32_e64 v24, v23
	s_cbranch_execz .LBB58_45
; %bb.43:                               ;   in Loop: Header=BB58_7 Depth=1
	v_ashrrev_i32_e32 v25, 31, v24
	s_mov_b32 s4, 0
	s_delay_alu instid0(VALU_DEP_1)
	v_lshlrev_b64_e32 v[26:27], 2, v[24:25]
.LBB58_44:                              ;   Parent Loop BB58_7 Depth=1
                                        ; =>  This Inner Loop Header: Depth=2
	s_delay_alu instid0(VALU_DEP_1)
	v_add_nc_u64_e32 v[28:29], s[18:19], v[26:27]
	v_add_nc_u64_e32 v[30:31], s[40:41], v[26:27]
	;; [unrolled: 1-line block ×3, first 2 shown]
	v_add_nc_u32_e32 v24, s30, v24
	global_load_b32 v22, v[28:29], off
	v_cmp_ge_i32_e32 vcc_lo, v24, v23
	s_or_b32 s4, vcc_lo, s4
	s_wait_loadcnt 0x0
	v_mul_f32_e32 v22, v6, v22
	global_store_b32 v[28:29], v22, off
	global_load_b32 v22, v[30:31], off
	s_wait_loadcnt 0x0
	v_mul_f32_e32 v22, v6, v22
	global_store_b32 v[30:31], v22, off
	s_wait_xcnt 0x0
	s_and_not1_b32 exec_lo, exec_lo, s4
	s_cbranch_execnz .LBB58_44
.LBB58_45:                              ;   in Loop: Header=BB58_7 Depth=1
	s_or_b32 exec_lo, exec_lo, s3
.LBB58_46:                              ;   in Loop: Header=BB58_7 Depth=1
	s_mov_b32 s3, 0
.LBB58_47:                              ;   in Loop: Header=BB58_7 Depth=1
	s_delay_alu instid0(SALU_CYCLE_1)
	s_and_not1_b32 vcc_lo, exec_lo, s3
	s_cbranch_vccnz .LBB58_54
; %bb.48:                               ;   in Loop: Header=BB58_7 Depth=1
	v_div_scale_f32 v6, null, s27, s27, s1
	v_div_scale_f32 v25, vcc_lo, s1, s27, s1
	s_delay_alu instid0(VALU_DEP_2)
	v_rcp_f32_e32 v24, v6
	v_nop
	v_xor_b32_e32 v6, 0x80000000, v6
	s_delay_alu instid0(TRANS32_DEP_1) | instid1(VALU_DEP_1)
	v_fma_f32 v22, v6, v24, 1.0
	s_delay_alu instid0(VALU_DEP_1) | instskip(SKIP_2) | instid1(VALU_DEP_1)
	v_fmac_f32_e32 v24, v22, v24
	ds_load_2addr_b32 v[22:23], v48 offset0:4 offset1:8
	v_mul_f32_e32 v26, v25, v24
	v_fma_f32 v27, v6, v26, v25
	s_delay_alu instid0(VALU_DEP_1) | instskip(NEXT) | instid1(VALU_DEP_1)
	v_fmac_f32_e32 v26, v27, v24
	v_fmac_f32_e32 v25, v6, v26
	s_delay_alu instid0(VALU_DEP_1) | instskip(NEXT) | instid1(VALU_DEP_1)
	v_div_fmas_f32 v6, v25, v24, v26
	v_div_fixup_f32 v6, v6, s27, s1
	s_and_saveexec_b32 s1, s2
	s_cbranch_execz .LBB58_50
; %bb.49:                               ;   in Loop: Header=BB58_7 Depth=1
	s_wait_dscnt 0x0
	global_load_b32 v24, v23, s[18:19] scale_offset
	s_wait_loadcnt 0x0
	v_mul_f32_e32 v24, v6, v24
	global_store_b32 v23, v24, s[18:19] scale_offset
.LBB58_50:                              ;   in Loop: Header=BB58_7 Depth=1
	s_wait_xcnt 0x0
	s_or_b32 exec_lo, exec_lo, s1
	s_wait_dscnt 0x0
	v_add_nc_u32_e32 v24, v22, v0
	s_mov_b32 s1, exec_lo
	s_delay_alu instid0(VALU_DEP_1)
	v_cmpx_lt_i32_e64 v24, v23
	s_cbranch_execz .LBB58_53
; %bb.51:                               ;   in Loop: Header=BB58_7 Depth=1
	v_ashrrev_i32_e32 v25, 31, v24
	s_mov_b32 s3, 0
	s_delay_alu instid0(VALU_DEP_1)
	v_lshlrev_b64_e32 v[26:27], 2, v[24:25]
.LBB58_52:                              ;   Parent Loop BB58_7 Depth=1
                                        ; =>  This Inner Loop Header: Depth=2
	s_delay_alu instid0(VALU_DEP_1)
	v_add_nc_u64_e32 v[28:29], s[18:19], v[26:27]
	v_add_nc_u64_e32 v[30:31], s[40:41], v[26:27]
	;; [unrolled: 1-line block ×3, first 2 shown]
	v_add_nc_u32_e32 v24, s30, v24
	global_load_b32 v22, v[28:29], off
	v_cmp_ge_i32_e32 vcc_lo, v24, v23
	s_or_b32 s3, vcc_lo, s3
	s_wait_loadcnt 0x0
	v_mul_f32_e32 v22, v6, v22
	global_store_b32 v[28:29], v22, off
	global_load_b32 v22, v[30:31], off
	s_wait_loadcnt 0x0
	v_mul_f32_e32 v22, v6, v22
	global_store_b32 v[30:31], v22, off
	s_wait_xcnt 0x0
	s_and_not1_b32 exec_lo, exec_lo, s3
	s_cbranch_execnz .LBB58_52
.LBB58_53:                              ;   in Loop: Header=BB58_7 Depth=1
	s_or_b32 exec_lo, exec_lo, s1
.LBB58_54:                              ;   in Loop: Header=BB58_7 Depth=1
	s_wait_storecnt 0x0
	s_barrier_signal -1
	s_barrier_wait -1
	ds_load_b32 v25, v48 offset:28
	ds_load_2addr_b32 v[22:23], v48 offset1:5
	s_mov_b32 s4, -1
                                        ; implicit-def: $vgpr28_vgpr29
                                        ; implicit-def: $vgpr26_vgpr27
	s_wait_dscnt 0x1
	v_cmp_gt_i32_e64 s1, s24, v25
	s_wait_dscnt 0x0
	v_cmp_lt_i32_e32 vcc_lo, v23, v22
	v_mov_b32_e32 v24, v23
                                        ; implicit-def: $vgpr23
	s_delay_alu instid0(VALU_DEP_3) | instskip(NEXT) | instid1(VALU_DEP_1)
	v_cndmask_b32_e64 v6, 0, 1, s1
	v_cmp_ne_u32_e64 s3, 1, v6
	s_cbranch_vccnz .LBB58_57
; %bb.55:                               ;   in Loop: Header=BB58_7 Depth=1
	v_mov_b64_e32 v[28:29], v[12:13]
	v_mov_b64_e32 v[26:27], v[10:11]
	v_dual_mov_b32 v23, v1 :: v_dual_mov_b32 v39, v25
	v_dual_mov_b32 v38, v24 :: v_dual_mov_b32 v30, v22
	s_and_b32 vcc_lo, exec_lo, s3
	s_cbranch_vccz .LBB58_153
.LBB58_56:                              ;   in Loop: Header=BB58_7 Depth=1
	s_mov_b32 s4, 0
.LBB58_57:                              ;   in Loop: Header=BB58_7 Depth=1
	s_delay_alu instid0(SALU_CYCLE_1)
	s_and_not1_b32 vcc_lo, exec_lo, s4
	s_cbranch_vccz .LBB58_74
; %bb.58:                               ;   in Loop: Header=BB58_7 Depth=1
	v_mov_b64_e32 v[10:11], v[26:27]
	v_mov_b64_e32 v[12:13], v[28:29]
	v_mov_b32_e32 v1, v23
.LBB58_59:                              ;   in Loop: Header=BB58_7 Depth=1
	s_barrier_signal -1
	s_barrier_wait -1
	ds_load_b32 v6, v48 offset:24
	s_wait_dscnt 0x0
	v_cmp_nlt_f32_e32 vcc_lo, s27, v6
	s_cbranch_vccnz .LBB58_66
; %bb.60:                               ;   in Loop: Header=BB58_7 Depth=1
	v_div_scale_f32 v22, null, v6, v6, s27
	v_div_scale_f32 v26, vcc_lo, s27, v6, s27
	s_delay_alu instid0(VALU_DEP_2)
	v_rcp_f32_e32 v24, v22
	v_xor_b32_e32 v25, 0x80000000, v22
	s_delay_alu instid0(TRANS32_DEP_1) | instid1(VALU_DEP_1)
	v_fma_f32 v22, v25, v24, 1.0
	s_delay_alu instid0(VALU_DEP_1) | instskip(SKIP_2) | instid1(VALU_DEP_1)
	v_fmac_f32_e32 v24, v22, v24
	ds_load_2addr_b32 v[22:23], v48 offset0:4 offset1:8
	v_mul_f32_e32 v27, v26, v24
	v_fma_f32 v28, v25, v27, v26
	s_delay_alu instid0(VALU_DEP_1) | instskip(NEXT) | instid1(VALU_DEP_1)
	v_fmac_f32_e32 v27, v28, v24
	v_fmac_f32_e32 v26, v25, v27
	s_delay_alu instid0(VALU_DEP_1) | instskip(NEXT) | instid1(VALU_DEP_1)
	v_div_fmas_f32 v24, v26, v24, v27
	v_div_fixup_f32 v28, v24, v6, s27
	s_and_saveexec_b32 s1, s2
	s_cbranch_execz .LBB58_62
; %bb.61:                               ;   in Loop: Header=BB58_7 Depth=1
	s_wait_dscnt 0x0
	global_load_b32 v24, v23, s[18:19] scale_offset
	s_wait_loadcnt 0x0
	v_mul_f32_e32 v24, v28, v24
	global_store_b32 v23, v24, s[18:19] scale_offset
.LBB58_62:                              ;   in Loop: Header=BB58_7 Depth=1
	s_wait_xcnt 0x0
	s_or_b32 exec_lo, exec_lo, s1
	s_wait_dscnt 0x0
	v_add_nc_u32_e32 v24, v22, v0
	s_mov_b32 s1, exec_lo
	s_delay_alu instid0(VALU_DEP_1)
	v_cmpx_lt_i32_e64 v24, v23
	s_cbranch_execz .LBB58_65
; %bb.63:                               ;   in Loop: Header=BB58_7 Depth=1
	v_ashrrev_i32_e32 v25, 31, v24
	s_mov_b32 s3, 0
	s_delay_alu instid0(VALU_DEP_1)
	v_lshlrev_b64_e32 v[26:27], 2, v[24:25]
.LBB58_64:                              ;   Parent Loop BB58_7 Depth=1
                                        ; =>  This Inner Loop Header: Depth=2
	s_delay_alu instid0(VALU_DEP_1)
	v_add_nc_u64_e32 v[30:31], s[18:19], v[26:27]
	v_add_nc_u64_e32 v[32:33], s[40:41], v[26:27]
	;; [unrolled: 1-line block ×3, first 2 shown]
	v_add_nc_u32_e32 v24, s30, v24
	global_load_b32 v22, v[30:31], off
	v_cmp_ge_i32_e32 vcc_lo, v24, v23
	s_or_b32 s3, vcc_lo, s3
	s_wait_loadcnt 0x0
	v_mul_f32_e32 v22, v28, v22
	global_store_b32 v[30:31], v22, off
	global_load_b32 v22, v[32:33], off
	s_wait_loadcnt 0x0
	v_mul_f32_e32 v22, v28, v22
	global_store_b32 v[32:33], v22, off
	s_wait_xcnt 0x0
	s_and_not1_b32 exec_lo, exec_lo, s3
	s_cbranch_execnz .LBB58_64
.LBB58_65:                              ;   in Loop: Header=BB58_7 Depth=1
	s_or_b32 exec_lo, exec_lo, s1
.LBB58_66:                              ;   in Loop: Header=BB58_7 Depth=1
	v_cmp_ngt_f32_e32 vcc_lo, s26, v6
	s_cbranch_vccnz .LBB58_5
; %bb.67:                               ;   in Loop: Header=BB58_7 Depth=1
	v_div_scale_f32 v22, null, v6, v6, s26
	v_div_scale_f32 v26, vcc_lo, s26, v6, s26
	s_delay_alu instid0(VALU_DEP_2)
	v_rcp_f32_e32 v24, v22
	v_xor_b32_e32 v25, 0x80000000, v22
	s_delay_alu instid0(TRANS32_DEP_1) | instid1(VALU_DEP_1)
	v_fma_f32 v22, v25, v24, 1.0
	s_delay_alu instid0(VALU_DEP_1) | instskip(SKIP_2) | instid1(VALU_DEP_1)
	v_fmac_f32_e32 v24, v22, v24
	ds_load_2addr_b32 v[22:23], v48 offset0:4 offset1:8
	v_mul_f32_e32 v27, v26, v24
	v_fma_f32 v28, v25, v27, v26
	s_delay_alu instid0(VALU_DEP_1) | instskip(NEXT) | instid1(VALU_DEP_1)
	v_fmac_f32_e32 v27, v28, v24
	v_fmac_f32_e32 v26, v25, v27
	s_delay_alu instid0(VALU_DEP_1) | instskip(NEXT) | instid1(VALU_DEP_1)
	v_div_fmas_f32 v24, v26, v24, v27
	v_div_fixup_f32 v6, v24, v6, s26
	s_and_saveexec_b32 s1, s2
	s_cbranch_execz .LBB58_69
; %bb.68:                               ;   in Loop: Header=BB58_7 Depth=1
	s_wait_dscnt 0x0
	global_load_b32 v24, v23, s[18:19] scale_offset
	s_wait_loadcnt 0x0
	v_mul_f32_e32 v24, v6, v24
	global_store_b32 v23, v24, s[18:19] scale_offset
.LBB58_69:                              ;   in Loop: Header=BB58_7 Depth=1
	s_wait_xcnt 0x0
	s_or_b32 exec_lo, exec_lo, s1
	s_wait_dscnt 0x0
	v_add_nc_u32_e32 v24, v22, v0
	s_mov_b32 s1, exec_lo
	s_delay_alu instid0(VALU_DEP_1)
	v_cmpx_lt_i32_e64 v24, v23
	s_cbranch_execz .LBB58_4
; %bb.70:                               ;   in Loop: Header=BB58_7 Depth=1
	v_ashrrev_i32_e32 v25, 31, v24
	s_mov_b32 s3, 0
	s_delay_alu instid0(VALU_DEP_1)
	v_lshlrev_b64_e32 v[26:27], 2, v[24:25]
.LBB58_71:                              ;   Parent Loop BB58_7 Depth=1
                                        ; =>  This Inner Loop Header: Depth=2
	s_delay_alu instid0(VALU_DEP_1)
	v_add_nc_u64_e32 v[28:29], s[18:19], v[26:27]
	v_add_nc_u64_e32 v[30:31], s[40:41], v[26:27]
	;; [unrolled: 1-line block ×3, first 2 shown]
	v_add_nc_u32_e32 v24, s30, v24
	global_load_b32 v22, v[28:29], off
	v_cmp_ge_i32_e32 vcc_lo, v24, v23
	s_or_b32 s3, vcc_lo, s3
	s_wait_loadcnt 0x0
	v_mul_f32_e32 v22, v6, v22
	global_store_b32 v[28:29], v22, off
	global_load_b32 v22, v[30:31], off
	s_wait_loadcnt 0x0
	v_mul_f32_e32 v22, v6, v22
	global_store_b32 v[30:31], v22, off
	s_wait_xcnt 0x0
	s_and_not1_b32 exec_lo, exec_lo, s3
	s_cbranch_execnz .LBB58_71
	s_branch .LBB58_4
.LBB58_72:                              ;   in Loop: Header=BB58_74 Depth=2
	s_or_b32 exec_lo, exec_lo, s1
	s_wait_storecnt 0x0
	s_barrier_signal -1
	s_barrier_wait -1
	ds_load_b32 v22, v48
.LBB58_73:                              ;   in Loop: Header=BB58_74 Depth=2
	ds_load_2addr_b32 v[24:25], v48 offset0:5 offset1:7
	s_wait_dscnt 0x0
	v_cmp_ge_i32_e32 vcc_lo, v22, v24
	v_cmp_gt_i32_e64 s1, s24, v25
	s_and_b32 s1, vcc_lo, s1
.LBB58_74:                              ;   Parent Loop BB58_7 Depth=1
                                        ; =>  This Loop Header: Depth=2
                                        ;       Child Loop BB58_81 Depth 3
                                        ;       Child Loop BB58_101 Depth 3
	;; [unrolled: 1-line block ×3, first 2 shown]
                                        ;         Child Loop BB58_149 Depth 4
	s_delay_alu instid0(SALU_CYCLE_1)
	s_and_not1_b32 vcc_lo, exec_lo, s1
	s_cbranch_vccnz .LBB58_59
; %bb.75:                               ;   in Loop: Header=BB58_74 Depth=2
	s_and_saveexec_b32 s4, s2
	s_cbranch_execz .LBB58_144
; %bb.76:                               ;   in Loop: Header=BB58_74 Depth=2
	v_cmp_gt_i32_e32 vcc_lo, v22, v24
	s_mov_b32 s1, 0
	s_cbranch_vccnz .LBB58_78
; %bb.77:                               ;   in Loop: Header=BB58_74 Depth=2
	v_ashrrev_i32_e32 v23, 31, v22
	s_mov_b32 s3, -1
	s_delay_alu instid0(VALU_DEP_1)
	v_mov_b64_e32 v[30:31], v[22:23]
	v_mov_b32_e32 v26, v22
	s_cbranch_execz .LBB58_79
	s_branch .LBB58_84
.LBB58_78:                              ;   in Loop: Header=BB58_74 Depth=2
	s_mov_b32 s3, 0
                                        ; implicit-def: $vgpr30_vgpr31
	v_mov_b32_e32 v26, v22
.LBB58_79:                              ;   in Loop: Header=BB58_74 Depth=2
	v_dual_mov_b32 v6, v22 :: v_dual_ashrrev_i32 v23, 31, v22
	s_delay_alu instid0(VALU_DEP_1) | instskip(NEXT) | instid1(VALU_DEP_1)
	v_lshlrev_b64_e32 v[14:15], 2, v[22:23]
	v_add_nc_u64_e32 v[8:9], s[40:41], v[14:15]
	v_add_nc_u64_e32 v[14:15], s[68:69], v[14:15]
	s_branch .LBB58_81
.LBB58_80:                              ;   in Loop: Header=BB58_81 Depth=3
	v_add_nc_u32_e32 v6, -1, v49
	v_add_nc_u64_e32 v[14:15], -4, v[14:15]
	s_mov_b32 s1, 0
	s_delay_alu instid0(VALU_DEP_2)
	v_cmp_le_i32_e64 s3, v6, v24
	v_add_nc_u64_e32 v[8:9], -4, v[8:9]
	s_and_not1_b32 vcc_lo, exec_lo, s3
	s_cbranch_vccz .LBB58_83
.LBB58_81:                              ;   Parent Loop BB58_7 Depth=1
                                        ;     Parent Loop BB58_74 Depth=2
                                        ; =>    This Inner Loop Header: Depth=3
	global_load_b64 v[26:27], v[14:15], off
	global_load_b32 v28, v[8:9], off offset:-4
	s_wait_loadcnt 0x1
	v_dual_mov_b32 v49, v6 :: v_dual_mul_f32 v26, v27, v26
	s_wait_loadcnt 0x0
	v_mul_f32_e32 v27, v28, v28
	s_delay_alu instid0(VALU_DEP_2) | instskip(NEXT) | instid1(VALU_DEP_2)
	v_and_b32_e32 v26, 0x7fffffff, v26
	v_and_b32_e32 v27, 0x7fffffff, v27
	s_delay_alu instid0(VALU_DEP_2) | instskip(NEXT) | instid1(VALU_DEP_1)
	v_mul_f32_e32 v26, s10, v26
	v_cmp_le_f32_e32 vcc_lo, v27, v26
	s_cbranch_vccz .LBB58_80
; %bb.82:                               ;   in Loop: Header=BB58_74 Depth=2
	s_mov_b32 s1, -1
                                        ; implicit-def: $vgpr6
                                        ; implicit-def: $vgpr14_vgpr15
	v_add_nc_u64_e32 v[8:9], -4, v[8:9]
.LBB58_83:                              ;   in Loop: Header=BB58_74 Depth=2
	v_mov_b64_e32 v[14:15], v[22:23]
	v_mov_b64_e32 v[30:31], v[22:23]
	v_mov_b32_e32 v26, v24
	s_xor_b32 s3, s1, -1
	s_mov_b32 s1, -1
.LBB58_84:                              ;   in Loop: Header=BB58_74 Depth=2
	s_and_b32 vcc_lo, exec_lo, s3
	s_cbranch_vccnz .LBB58_113
; %bb.85:                               ;   in Loop: Header=BB58_74 Depth=2
	s_and_not1_b32 vcc_lo, exec_lo, s1
	s_cbranch_vccnz .LBB58_87
.LBB58_86:                              ;   in Loop: Header=BB58_74 Depth=2
	v_mov_b64_e32 v[30:31], v[14:15]
	v_mov_b32_e32 v26, v49
	ds_store_2addr_b32 v48, v49, v22 offset0:1 offset1:4
	global_store_b32 v[8:9], v48, off
.LBB58_87:                              ;   in Loop: Header=BB58_74 Depth=2
	v_lshl_add_u64 v[28:29], v[30:31], 2, s[18:19]
	v_add_nc_u32_e32 v6, -1, v22
	s_mov_b32 s1, exec_lo
	global_load_b32 v24, v[28:29], off
	s_wait_loadcnt 0x0
	ds_store_b32 v48, v24 offset:8
	s_wait_xcnt 0x0
	v_cmpx_ne_u32_e64 v26, v22
	s_xor_b32 s31, exec_lo, s1
	s_cbranch_execz .LBB58_141
; %bb.88:                               ;   in Loop: Header=BB58_74 Depth=2
	s_mov_b32 s1, exec_lo
	v_cmpx_ne_u32_e64 v26, v6
	s_xor_b32 s3, exec_lo, s1
	s_cbranch_execz .LBB58_117
; %bb.89:                               ;   in Loop: Header=BB58_74 Depth=2
	v_lshl_add_u64 v[30:31], v[30:31], 2, s[40:41]
	v_add_nc_u32_e32 v25, 1, v25
	s_mov_b32 s33, exec_lo
	global_load_b32 v6, v[28:29], off offset:-4
	global_load_b32 v27, v[30:31], off offset:-4
	global_load_b32 v23, v26, s[18:19] scale_offset
	ds_store_2addr_b32 v48, v48, v25 offset0:2 offset1:7
	s_wait_loadcnt 0x1
	v_dual_sub_f32 v6, v6, v24 :: v_dual_add_f32 v32, v27, v27
	s_delay_alu instid0(VALU_DEP_1) | instskip(SKIP_1) | instid1(VALU_DEP_2)
	v_div_scale_f32 v33, null, v32, v32, v6
	v_div_scale_f32 v36, vcc_lo, v6, v32, v6
	v_rcp_f32_e32 v34, v33
	v_nop
	s_delay_alu instid0(TRANS32_DEP_1) | instskip(NEXT) | instid1(VALU_DEP_1)
	v_fma_f32 v35, -v33, v34, 1.0
	v_fmac_f32_e32 v34, v35, v34
	s_delay_alu instid0(VALU_DEP_1) | instskip(NEXT) | instid1(VALU_DEP_1)
	v_mul_f32_e32 v35, v36, v34
	v_fma_f32 v37, -v33, v35, v36
	s_delay_alu instid0(VALU_DEP_1) | instskip(NEXT) | instid1(VALU_DEP_1)
	v_fmac_f32_e32 v35, v37, v34
	v_fma_f32 v33, -v33, v35, v36
	s_delay_alu instid0(VALU_DEP_1) | instskip(NEXT) | instid1(VALU_DEP_1)
	v_div_fmas_f32 v33, v33, v34, v35
	v_div_fixup_f32 v6, v33, v32, v6
	s_delay_alu instid0(VALU_DEP_1) | instskip(NEXT) | instid1(VALU_DEP_1)
	v_fma_f32 v32, v6, v6, 1.0
	v_mul_f32_e32 v33, 0x4f800000, v32
	v_cmp_gt_f32_e32 vcc_lo, 0xf800000, v32
	s_delay_alu instid0(VALU_DEP_2) | instskip(NEXT) | instid1(VALU_DEP_1)
	v_cndmask_b32_e32 v32, v32, v33, vcc_lo
	v_sqrt_f32_e32 v33, v32
	v_nop
	s_delay_alu instid0(TRANS32_DEP_1) | instskip(NEXT) | instid1(VALU_DEP_1)
	v_dual_add_nc_u32 v34, -1, v33 :: v_dual_add_nc_u32 v35, 1, v33
	v_fma_f32 v36, -v34, v33, v32
	s_delay_alu instid0(VALU_DEP_1) | instskip(NEXT) | instid1(VALU_DEP_1)
	v_cmp_ge_f32_e64 s1, 0, v36
	v_dual_fma_f32 v37, -v35, v33, v32 :: v_dual_cndmask_b32 v33, v33, v34, s1
	s_delay_alu instid0(VALU_DEP_1) | instskip(NEXT) | instid1(VALU_DEP_1)
	v_cmp_lt_f32_e64 s1, 0, v37
	v_cndmask_b32_e64 v33, v33, v35, s1
	s_delay_alu instid0(VALU_DEP_1) | instskip(NEXT) | instid1(VALU_DEP_1)
	v_mul_f32_e32 v34, 0x37800000, v33
	v_cndmask_b32_e32 v33, v33, v34, vcc_lo
	v_cmp_class_f32_e64 vcc_lo, v32, 0x260
	s_delay_alu instid0(VALU_DEP_2) | instskip(SKIP_1) | instid1(VALU_DEP_2)
	v_cndmask_b32_e32 v32, v33, v32, vcc_lo
	v_cmp_nle_f32_e32 vcc_lo, 0, v6
	v_cndmask_b32_e64 v32, |v32|, -|v32|, vcc_lo
	s_delay_alu instid0(VALU_DEP_1) | instskip(NEXT) | instid1(VALU_DEP_1)
	v_add_f32_e32 v6, v6, v32
	v_div_scale_f32 v32, null, v6, v6, v27
	v_div_scale_f32 v35, vcc_lo, v27, v6, v27
	s_delay_alu instid0(VALU_DEP_2) | instskip(SKIP_1) | instid1(TRANS32_DEP_1)
	v_rcp_f32_e32 v33, v32
	v_nop
	v_fma_f32 v34, -v32, v33, 1.0
	s_delay_alu instid0(VALU_DEP_1) | instskip(NEXT) | instid1(VALU_DEP_1)
	v_fmac_f32_e32 v33, v34, v33
	v_mul_f32_e32 v34, v35, v33
	s_delay_alu instid0(VALU_DEP_1) | instskip(NEXT) | instid1(VALU_DEP_1)
	v_fma_f32 v36, -v32, v34, v35
	v_fmac_f32_e32 v34, v36, v33
	s_delay_alu instid0(VALU_DEP_1) | instskip(NEXT) | instid1(VALU_DEP_1)
	v_fma_f32 v32, -v32, v34, v35
	v_div_fmas_f32 v32, v32, v33, v34
	s_wait_loadcnt 0x0
	v_sub_f32_e32 v33, v23, v24
	s_delay_alu instid0(VALU_DEP_2) | instskip(NEXT) | instid1(VALU_DEP_1)
	v_div_fixup_f32 v27, v32, v6, v27
	v_dual_mov_b32 v6, 0 :: v_dual_add_f32 v33, v33, v27
	s_wait_xcnt 0x0
	v_cmpx_lt_i32_e64 v26, v22
	s_cbranch_execz .LBB58_116
; %bb.90:                               ;   in Loop: Header=BB58_74 Depth=2
	v_ashrrev_i32_e32 v27, 31, v26
	s_mov_b32 s35, exec_lo
	s_delay_alu instid0(VALU_DEP_1)
	v_lshl_add_u64 v[24:25], v[26:27], 2, s[40:41]
	global_load_b32 v32, v[24:25], off
	s_wait_xcnt 0x0
	v_dual_mov_b32 v24, 0 :: v_dual_mov_b32 v25, 1.0
	s_wait_loadcnt 0x0
	v_cmpx_neq_f32_e32 0, v32
	s_cbranch_execz .LBB58_98
; %bb.91:                               ;   in Loop: Header=BB58_74 Depth=2
	v_dual_mov_b32 v25, 0 :: v_dual_mov_b32 v24, 1.0
	s_mov_b32 s70, exec_lo
	v_cmpx_neq_f32_e32 0, v33
	s_cbranch_execz .LBB58_97
; %bb.92:                               ;   in Loop: Header=BB58_74 Depth=2
	s_mov_b32 s71, exec_lo
                                        ; implicit-def: $vgpr25
	v_cmpx_ngt_f32_e64 |v32|, |v33|
	s_xor_b32 s71, exec_lo, s71
	s_cbranch_execz .LBB58_94
; %bb.93:                               ;   in Loop: Header=BB58_74 Depth=2
	v_div_scale_f32 v6, null, v33, v33, -v32
	v_div_scale_f32 v34, vcc_lo, -v32, v33, -v32
	s_delay_alu instid0(VALU_DEP_2) | instskip(SKIP_1) | instid1(TRANS32_DEP_1)
	v_rcp_f32_e32 v24, v6
	v_nop
	v_fma_f32 v25, -v6, v24, 1.0
	s_delay_alu instid0(VALU_DEP_1) | instskip(NEXT) | instid1(VALU_DEP_1)
	v_fmac_f32_e32 v24, v25, v24
	v_mul_f32_e32 v25, v34, v24
	s_delay_alu instid0(VALU_DEP_1) | instskip(NEXT) | instid1(VALU_DEP_1)
	v_fma_f32 v35, -v6, v25, v34
	v_fmac_f32_e32 v25, v35, v24
	s_delay_alu instid0(VALU_DEP_1) | instskip(NEXT) | instid1(VALU_DEP_1)
	v_fma_f32 v6, -v6, v25, v34
	v_div_fmas_f32 v6, v6, v24, v25
	s_delay_alu instid0(VALU_DEP_1) | instskip(NEXT) | instid1(VALU_DEP_1)
	v_div_fixup_f32 v6, v6, v33, -v32
	v_fma_f32 v24, v6, v6, 1.0
	s_delay_alu instid0(VALU_DEP_1) | instskip(SKIP_1) | instid1(VALU_DEP_2)
	v_mul_f32_e32 v25, 0x4f800000, v24
	v_cmp_gt_f32_e32 vcc_lo, 0xf800000, v24
	v_cndmask_b32_e32 v24, v24, v25, vcc_lo
	s_delay_alu instid0(VALU_DEP_1) | instskip(SKIP_1) | instid1(TRANS32_DEP_1)
	v_sqrt_f32_e32 v25, v24
	v_nop
	v_dual_add_nc_u32 v33, -1, v25 :: v_dual_add_nc_u32 v34, 1, v25
	s_delay_alu instid0(VALU_DEP_1) | instskip(NEXT) | instid1(VALU_DEP_1)
	v_dual_fma_f32 v35, -v33, v25, v24 :: v_dual_fma_f32 v36, -v34, v25, v24
	v_cmp_ge_f32_e64 s1, 0, v35
	s_delay_alu instid0(VALU_DEP_1) | instskip(NEXT) | instid1(VALU_DEP_3)
	v_cndmask_b32_e64 v25, v25, v33, s1
	v_cmp_lt_f32_e64 s1, 0, v36
	s_delay_alu instid0(VALU_DEP_1) | instskip(NEXT) | instid1(VALU_DEP_1)
	v_cndmask_b32_e64 v25, v25, v34, s1
	v_mul_f32_e32 v33, 0x37800000, v25
	s_delay_alu instid0(VALU_DEP_1) | instskip(SKIP_1) | instid1(VALU_DEP_2)
	v_cndmask_b32_e32 v25, v25, v33, vcc_lo
	v_cmp_class_f32_e64 vcc_lo, v24, 0x260
	v_cndmask_b32_e32 v24, v25, v24, vcc_lo
	s_delay_alu instid0(VALU_DEP_1) | instskip(NEXT) | instid1(VALU_DEP_1)
	v_div_scale_f32 v25, null, v24, v24, 1.0
	v_rcp_f32_e32 v33, v25
	v_nop
	s_delay_alu instid0(TRANS32_DEP_1) | instskip(NEXT) | instid1(VALU_DEP_1)
	v_fma_f32 v34, -v25, v33, 1.0
	v_fmac_f32_e32 v33, v34, v33
	v_div_scale_f32 v34, vcc_lo, 1.0, v24, 1.0
	s_delay_alu instid0(VALU_DEP_1) | instskip(NEXT) | instid1(VALU_DEP_1)
	v_mul_f32_e32 v35, v34, v33
	v_fma_f32 v36, -v25, v35, v34
	s_delay_alu instid0(VALU_DEP_1) | instskip(NEXT) | instid1(VALU_DEP_1)
	v_fmac_f32_e32 v35, v36, v33
	v_fma_f32 v25, -v25, v35, v34
	s_delay_alu instid0(VALU_DEP_1) | instskip(NEXT) | instid1(VALU_DEP_1)
	v_div_fmas_f32 v25, v25, v33, v35
                                        ; implicit-def: $vgpr33
	v_div_fixup_f32 v25, v25, v24, 1.0
	s_delay_alu instid0(VALU_DEP_1)
	v_mul_f32_e32 v24, v6, v25
.LBB58_94:                              ;   in Loop: Header=BB58_74 Depth=2
	s_and_not1_saveexec_b32 s71, s71
	s_cbranch_execz .LBB58_96
; %bb.95:                               ;   in Loop: Header=BB58_74 Depth=2
	v_div_scale_f32 v6, null, v32, v32, -v33
	v_div_scale_f32 v34, vcc_lo, -v33, v32, -v33
	s_delay_alu instid0(VALU_DEP_2) | instskip(SKIP_1) | instid1(TRANS32_DEP_1)
	v_rcp_f32_e32 v24, v6
	v_nop
	v_fma_f32 v25, -v6, v24, 1.0
	s_delay_alu instid0(VALU_DEP_1) | instskip(NEXT) | instid1(VALU_DEP_1)
	v_fmac_f32_e32 v24, v25, v24
	v_mul_f32_e32 v25, v34, v24
	s_delay_alu instid0(VALU_DEP_1) | instskip(NEXT) | instid1(VALU_DEP_1)
	v_fma_f32 v35, -v6, v25, v34
	v_fmac_f32_e32 v25, v35, v24
	s_delay_alu instid0(VALU_DEP_1) | instskip(NEXT) | instid1(VALU_DEP_1)
	v_fma_f32 v6, -v6, v25, v34
	v_div_fmas_f32 v6, v6, v24, v25
	s_delay_alu instid0(VALU_DEP_1) | instskip(NEXT) | instid1(VALU_DEP_1)
	v_div_fixup_f32 v6, v6, v32, -v33
	v_fma_f32 v24, v6, v6, 1.0
	s_delay_alu instid0(VALU_DEP_1) | instskip(SKIP_1) | instid1(VALU_DEP_2)
	v_mul_f32_e32 v25, 0x4f800000, v24
	v_cmp_gt_f32_e32 vcc_lo, 0xf800000, v24
	v_cndmask_b32_e32 v24, v24, v25, vcc_lo
	s_delay_alu instid0(VALU_DEP_1) | instskip(SKIP_1) | instid1(TRANS32_DEP_1)
	v_sqrt_f32_e32 v25, v24
	v_nop
	v_dual_add_nc_u32 v33, -1, v25 :: v_dual_add_nc_u32 v34, 1, v25
	s_delay_alu instid0(VALU_DEP_1) | instskip(NEXT) | instid1(VALU_DEP_1)
	v_dual_fma_f32 v35, -v33, v25, v24 :: v_dual_fma_f32 v36, -v34, v25, v24
	v_cmp_ge_f32_e64 s1, 0, v35
	s_delay_alu instid0(VALU_DEP_1) | instskip(NEXT) | instid1(VALU_DEP_3)
	v_cndmask_b32_e64 v25, v25, v33, s1
	v_cmp_lt_f32_e64 s1, 0, v36
	s_delay_alu instid0(VALU_DEP_1) | instskip(NEXT) | instid1(VALU_DEP_1)
	v_cndmask_b32_e64 v25, v25, v34, s1
	v_mul_f32_e32 v33, 0x37800000, v25
	s_delay_alu instid0(VALU_DEP_1) | instskip(SKIP_1) | instid1(VALU_DEP_2)
	v_cndmask_b32_e32 v25, v25, v33, vcc_lo
	v_cmp_class_f32_e64 vcc_lo, v24, 0x260
	v_cndmask_b32_e32 v24, v25, v24, vcc_lo
	s_delay_alu instid0(VALU_DEP_1) | instskip(NEXT) | instid1(VALU_DEP_1)
	v_div_scale_f32 v25, null, v24, v24, 1.0
	v_rcp_f32_e32 v33, v25
	v_nop
	s_delay_alu instid0(TRANS32_DEP_1) | instskip(NEXT) | instid1(VALU_DEP_1)
	v_fma_f32 v34, -v25, v33, 1.0
	v_fmac_f32_e32 v33, v34, v33
	v_div_scale_f32 v34, vcc_lo, 1.0, v24, 1.0
	s_delay_alu instid0(VALU_DEP_1) | instskip(NEXT) | instid1(VALU_DEP_1)
	v_mul_f32_e32 v35, v34, v33
	v_fma_f32 v36, -v25, v35, v34
	s_delay_alu instid0(VALU_DEP_1) | instskip(NEXT) | instid1(VALU_DEP_1)
	v_fmac_f32_e32 v35, v36, v33
	v_fma_f32 v25, -v25, v35, v34
	s_delay_alu instid0(VALU_DEP_1) | instskip(NEXT) | instid1(VALU_DEP_1)
	v_div_fmas_f32 v25, v25, v33, v35
	v_div_fixup_f32 v24, v25, v24, 1.0
	s_delay_alu instid0(VALU_DEP_1)
	v_mul_f32_e32 v25, v6, v24
.LBB58_96:                              ;   in Loop: Header=BB58_74 Depth=2
	s_or_b32 exec_lo, exec_lo, s71
.LBB58_97:                              ;   in Loop: Header=BB58_74 Depth=2
	s_delay_alu instid0(SALU_CYCLE_1)
	s_or_b32 exec_lo, exec_lo, s70
.LBB58_98:                              ;   in Loop: Header=BB58_74 Depth=2
	s_delay_alu instid0(SALU_CYCLE_1)
	s_or_b32 exec_lo, exec_lo, s35
	v_lshl_add_u64 v[36:37], v[26:27], 2, s[18:19]
	v_lshl_add_u64 v[38:39], v[26:27], 2, s[44:45]
	v_xor_b32_e32 v27, 0x80000000, v24
	s_mov_b32 s35, exec_lo
	global_load_b32 v6, v[36:37], off offset:4
	v_lshl_add_u64 v[40:41], s[6:7], 2, v[38:39]
	s_wait_loadcnt 0x0
	v_sub_f32_e32 v6, v6, v23
	s_delay_alu instid0(VALU_DEP_1) | instskip(NEXT) | instid1(VALU_DEP_1)
	v_pk_mul_f32 v[34:35], v[24:25], v[6:7]
	v_dual_fma_f32 v33, v32, v35, -v34 :: v_dual_add_nc_u32 v34, 1, v26
	s_delay_alu instid0(VALU_DEP_1)
	v_dual_mul_f32 v6, v33, -v24 :: v_dual_fma_f32 v23, v33, -v24, v23
	v_fma_f32 v33, v25, v33, -v32
	ds_store_b32 v48, v6 offset:8
	global_store_b32 v[36:37], v23, off
	s_clause 0x1
	global_store_b32 v[38:39], v25, off
	global_store_b32 v[40:41], v27, off offset:-4
	s_wait_xcnt 0x0
	v_cmpx_lt_i32_e64 v34, v22
	s_cbranch_execz .LBB58_115
; %bb.99:                               ;   in Loop: Header=BB58_74 Depth=2
	v_ashrrev_i32_e32 v35, 31, v34
	s_mov_b32 s71, 1
	s_mov_b32 s70, 0
	s_delay_alu instid0(VALU_DEP_1) | instskip(NEXT) | instid1(VALU_DEP_1)
	v_lshlrev_b64_e32 v[38:39], 2, v[34:35]
	v_add_nc_u64_e32 v[34:35], s[44:45], v[38:39]
	v_add_nc_u64_e32 v[36:37], s[58:59], v[38:39]
	v_add_nc_u64_e32 v[38:39], s[48:49], v[38:39]
	s_branch .LBB58_101
.LBB58_100:                             ;   in Loop: Header=BB58_101 Depth=3
	global_load_b64 v[32:33], v[38:39], off
	s_add_co_i32 s71, s71, 1
	v_add_nc_u64_e32 v[36:37], 4, v[36:37]
	v_add_nc_u64_e32 v[42:43], s[60:61], v[34:35]
	v_xor_b32_e32 v27, 0x80000000, v40
	s_wait_loadcnt 0x0
	v_dual_mul_f32 v23, v25, v23 :: v_dual_sub_f32 v32, v32, v6
	s_delay_alu instid0(VALU_DEP_1) | instskip(NEXT) | instid1(VALU_DEP_1)
	v_sub_f32_e32 v6, v33, v32
	v_pk_mul_f32 v[24:25], v[40:41], v[6:7]
	s_delay_alu instid0(VALU_DEP_1) | instskip(SKIP_1) | instid1(VALU_DEP_2)
	v_fma_f32 v33, v23, v25, -v24
	v_add_nc_u64_e32 v[24:25], 4, v[38:39]
	v_dual_add_nc_u32 v6, s71, v26 :: v_dual_fma_f32 v32, v33, -v40, v32
	global_store_b32 v[38:39], v32, off
	global_store_b32 v[34:35], v41, off
	v_cmp_ge_i32_e32 vcc_lo, v6, v22
	s_wait_xcnt 0x0
	v_add_nc_u64_e32 v[34:35], 4, v[34:35]
	v_mov_b64_e32 v[38:39], v[24:25]
	v_mul_f32_e64 v6, v33, -v40
	v_dual_fma_f32 v33, v41, v33, -v23 :: v_dual_mov_b32 v25, v41
	s_or_b32 s70, vcc_lo, s70
	global_store_b32 v[42:43], v27, off
	s_wait_xcnt 0x0
	s_and_not1_b32 exec_lo, exec_lo, s70
	s_cbranch_execz .LBB58_114
.LBB58_101:                             ;   Parent Loop BB58_7 Depth=1
                                        ;     Parent Loop BB58_74 Depth=2
                                        ; =>    This Inner Loop Header: Depth=3
	global_load_b32 v23, v[36:37], off offset:4
	v_mov_b32_e32 v41, 1.0
	s_mov_b32 s72, exec_lo
	s_wait_loadcnt 0x0
	v_dual_mov_b32 v40, 0 :: v_dual_mul_f32 v32, v27, v23
	s_wait_xcnt 0x0
	s_delay_alu instid0(VALU_DEP_1)
	v_cmpx_neq_f32_e32 0, v32
	s_cbranch_execz .LBB58_111
; %bb.102:                              ;   in Loop: Header=BB58_101 Depth=3
	v_xor_b32_e32 v24, 0x80000000, v32
                                        ; implicit-def: $vgpr41
	s_mov_b32 s1, exec_lo
	v_cmpx_neq_f32_e32 0, v33
	s_xor_b32 s73, exec_lo, s1
	s_cbranch_execz .LBB58_108
; %bb.103:                              ;   in Loop: Header=BB58_101 Depth=3
	s_mov_b32 s74, exec_lo
                                        ; implicit-def: $vgpr41
	v_cmpx_ngt_f32_e64 |v32|, |v33|
	s_xor_b32 s74, exec_lo, s74
	s_cbranch_execz .LBB58_105
; %bb.104:                              ;   in Loop: Header=BB58_101 Depth=3
	v_div_scale_f32 v24, null, v33, v33, -v32
	v_div_scale_f32 v41, vcc_lo, -v32, v33, -v32
	s_delay_alu instid0(VALU_DEP_2) | instskip(SKIP_1) | instid1(TRANS32_DEP_1)
	v_rcp_f32_e32 v27, v24
	v_nop
	v_fma_f32 v40, -v24, v27, 1.0
	s_delay_alu instid0(VALU_DEP_1) | instskip(NEXT) | instid1(VALU_DEP_1)
	v_fmac_f32_e32 v27, v40, v27
	v_mul_f32_e32 v40, v41, v27
	s_delay_alu instid0(VALU_DEP_1) | instskip(NEXT) | instid1(VALU_DEP_1)
	v_fma_f32 v42, -v24, v40, v41
	v_fmac_f32_e32 v40, v42, v27
	s_delay_alu instid0(VALU_DEP_1) | instskip(NEXT) | instid1(VALU_DEP_1)
	v_fma_f32 v24, -v24, v40, v41
	v_div_fmas_f32 v24, v24, v27, v40
	s_delay_alu instid0(VALU_DEP_1) | instskip(NEXT) | instid1(VALU_DEP_1)
	v_div_fixup_f32 v24, v24, v33, -v32
	v_fma_f32 v27, v24, v24, 1.0
	s_delay_alu instid0(VALU_DEP_1) | instskip(SKIP_1) | instid1(VALU_DEP_2)
	v_mul_f32_e32 v40, 0x4f800000, v27
	v_cmp_gt_f32_e32 vcc_lo, 0xf800000, v27
	v_cndmask_b32_e32 v27, v27, v40, vcc_lo
	s_delay_alu instid0(VALU_DEP_1) | instskip(SKIP_1) | instid1(TRANS32_DEP_1)
	v_sqrt_f32_e32 v40, v27
	v_nop
	v_dual_add_nc_u32 v41, -1, v40 :: v_dual_add_nc_u32 v42, 1, v40
	s_delay_alu instid0(VALU_DEP_1) | instskip(NEXT) | instid1(VALU_DEP_1)
	v_dual_fma_f32 v43, -v41, v40, v27 :: v_dual_fma_f32 v44, -v42, v40, v27
	v_cmp_ge_f32_e64 s1, 0, v43
	s_delay_alu instid0(VALU_DEP_1) | instskip(NEXT) | instid1(VALU_DEP_3)
	v_cndmask_b32_e64 v40, v40, v41, s1
	v_cmp_lt_f32_e64 s1, 0, v44
	s_delay_alu instid0(VALU_DEP_1) | instskip(NEXT) | instid1(VALU_DEP_1)
	v_cndmask_b32_e64 v40, v40, v42, s1
	v_mul_f32_e32 v41, 0x37800000, v40
	s_delay_alu instid0(VALU_DEP_1) | instskip(SKIP_1) | instid1(VALU_DEP_2)
	v_cndmask_b32_e32 v40, v40, v41, vcc_lo
	v_cmp_class_f32_e64 vcc_lo, v27, 0x260
	v_cndmask_b32_e32 v27, v40, v27, vcc_lo
	s_delay_alu instid0(VALU_DEP_1) | instskip(NEXT) | instid1(VALU_DEP_1)
	v_div_scale_f32 v40, null, v27, v27, 1.0
	v_rcp_f32_e32 v41, v40
	v_nop
	s_delay_alu instid0(TRANS32_DEP_1) | instskip(NEXT) | instid1(VALU_DEP_1)
	v_fma_f32 v42, -v40, v41, 1.0
	v_fmac_f32_e32 v41, v42, v41
	v_div_scale_f32 v42, vcc_lo, 1.0, v27, 1.0
	s_delay_alu instid0(VALU_DEP_1) | instskip(NEXT) | instid1(VALU_DEP_1)
	v_mul_f32_e32 v43, v42, v41
	v_fma_f32 v44, -v40, v43, v42
	s_delay_alu instid0(VALU_DEP_1) | instskip(NEXT) | instid1(VALU_DEP_1)
	v_fmac_f32_e32 v43, v44, v41
	v_fma_f32 v40, -v40, v43, v42
	s_delay_alu instid0(VALU_DEP_1) | instskip(NEXT) | instid1(VALU_DEP_1)
	v_div_fmas_f32 v40, v40, v41, v43
	v_div_fixup_f32 v41, v40, v27, 1.0
	s_delay_alu instid0(VALU_DEP_1)
	v_mul_f32_e32 v40, v24, v41
.LBB58_105:                             ;   in Loop: Header=BB58_101 Depth=3
	s_and_not1_saveexec_b32 s74, s74
	s_cbranch_execz .LBB58_107
; %bb.106:                              ;   in Loop: Header=BB58_101 Depth=3
	v_div_scale_f32 v24, null, v32, v32, -v33
	v_div_scale_f32 v41, vcc_lo, -v33, v32, -v33
	s_delay_alu instid0(VALU_DEP_2) | instskip(SKIP_1) | instid1(TRANS32_DEP_1)
	v_rcp_f32_e32 v27, v24
	v_nop
	v_fma_f32 v40, -v24, v27, 1.0
	s_delay_alu instid0(VALU_DEP_1) | instskip(NEXT) | instid1(VALU_DEP_1)
	v_fmac_f32_e32 v27, v40, v27
	v_mul_f32_e32 v40, v41, v27
	s_delay_alu instid0(VALU_DEP_1) | instskip(NEXT) | instid1(VALU_DEP_1)
	v_fma_f32 v42, -v24, v40, v41
	v_fmac_f32_e32 v40, v42, v27
	s_delay_alu instid0(VALU_DEP_1) | instskip(NEXT) | instid1(VALU_DEP_1)
	v_fma_f32 v24, -v24, v40, v41
	v_div_fmas_f32 v24, v24, v27, v40
	s_delay_alu instid0(VALU_DEP_1) | instskip(NEXT) | instid1(VALU_DEP_1)
	v_div_fixup_f32 v24, v24, v32, -v33
	v_fma_f32 v27, v24, v24, 1.0
	s_delay_alu instid0(VALU_DEP_1) | instskip(SKIP_1) | instid1(VALU_DEP_2)
	v_mul_f32_e32 v40, 0x4f800000, v27
	v_cmp_gt_f32_e32 vcc_lo, 0xf800000, v27
	v_cndmask_b32_e32 v27, v27, v40, vcc_lo
	s_delay_alu instid0(VALU_DEP_1) | instskip(SKIP_1) | instid1(TRANS32_DEP_1)
	v_sqrt_f32_e32 v40, v27
	v_nop
	v_dual_add_nc_u32 v41, -1, v40 :: v_dual_add_nc_u32 v42, 1, v40
	s_delay_alu instid0(VALU_DEP_1) | instskip(NEXT) | instid1(VALU_DEP_1)
	v_dual_fma_f32 v43, -v41, v40, v27 :: v_dual_fma_f32 v44, -v42, v40, v27
	v_cmp_ge_f32_e64 s1, 0, v43
	s_delay_alu instid0(VALU_DEP_1) | instskip(NEXT) | instid1(VALU_DEP_3)
	v_cndmask_b32_e64 v40, v40, v41, s1
	v_cmp_lt_f32_e64 s1, 0, v44
	s_delay_alu instid0(VALU_DEP_1) | instskip(NEXT) | instid1(VALU_DEP_1)
	v_cndmask_b32_e64 v40, v40, v42, s1
	v_mul_f32_e32 v41, 0x37800000, v40
	s_delay_alu instid0(VALU_DEP_1) | instskip(SKIP_1) | instid1(VALU_DEP_2)
	v_cndmask_b32_e32 v40, v40, v41, vcc_lo
	v_cmp_class_f32_e64 vcc_lo, v27, 0x260
	v_cndmask_b32_e32 v27, v40, v27, vcc_lo
	s_delay_alu instid0(VALU_DEP_1) | instskip(NEXT) | instid1(VALU_DEP_1)
	v_div_scale_f32 v40, null, v27, v27, 1.0
	v_rcp_f32_e32 v41, v40
	v_nop
	s_delay_alu instid0(TRANS32_DEP_1) | instskip(NEXT) | instid1(VALU_DEP_1)
	v_fma_f32 v42, -v40, v41, 1.0
	v_fmac_f32_e32 v41, v42, v41
	v_div_scale_f32 v42, vcc_lo, 1.0, v27, 1.0
	s_delay_alu instid0(VALU_DEP_1) | instskip(NEXT) | instid1(VALU_DEP_1)
	v_mul_f32_e32 v43, v42, v41
	v_fma_f32 v44, -v40, v43, v42
	s_delay_alu instid0(VALU_DEP_1) | instskip(NEXT) | instid1(VALU_DEP_1)
	v_fmac_f32_e32 v43, v44, v41
	v_fma_f32 v40, -v40, v43, v42
	s_delay_alu instid0(VALU_DEP_1) | instskip(NEXT) | instid1(VALU_DEP_1)
	v_div_fmas_f32 v40, v40, v41, v43
	v_div_fixup_f32 v40, v40, v27, 1.0
	s_delay_alu instid0(VALU_DEP_1)
	v_mul_f32_e32 v41, v24, v40
.LBB58_107:                             ;   in Loop: Header=BB58_101 Depth=3
	s_or_b32 exec_lo, exec_lo, s74
	s_delay_alu instid0(VALU_DEP_1) | instskip(NEXT) | instid1(VALU_DEP_1)
	v_pk_mul_f32 v[32:33], v[32:33], v[40:41]
	v_sub_f32_e32 v24, v33, v32
.LBB58_108:                             ;   in Loop: Header=BB58_101 Depth=3
	s_and_not1_saveexec_b32 s1, s73
; %bb.109:                              ;   in Loop: Header=BB58_101 Depth=3
	v_dual_mov_b32 v40, 1.0 :: v_dual_mov_b32 v41, 0
; %bb.110:                              ;   in Loop: Header=BB58_101 Depth=3
	s_or_b32 exec_lo, exec_lo, s1
	s_delay_alu instid0(VALU_DEP_2)
	v_mov_b32_e32 v33, v24
.LBB58_111:                             ;   in Loop: Header=BB58_101 Depth=3
	s_or_b32 exec_lo, exec_lo, s72
	s_cmp_eq_u32 s71, 0
	s_cbranch_scc1 .LBB58_100
; %bb.112:                              ;   in Loop: Header=BB58_101 Depth=3
	global_store_b32 v[36:37], v33, off
	s_branch .LBB58_100
.LBB58_113:                             ;   in Loop: Header=BB58_74 Depth=2
	ds_store_2addr_b32 v48, v26, v22 offset0:1 offset1:4
	s_cbranch_execz .LBB58_86
	s_branch .LBB58_87
.LBB58_114:                             ;   in Loop: Header=BB58_74 Depth=2
	s_or_b32 exec_lo, exec_lo, s70
	ds_store_b32 v48, v6 offset:8
.LBB58_115:                             ;   in Loop: Header=BB58_74 Depth=2
	s_or_b32 exec_lo, exec_lo, s35
	global_load_b32 v24, v[28:29], off
.LBB58_116:                             ;   in Loop: Header=BB58_74 Depth=2
	s_wait_xcnt 0x0
	s_or_b32 exec_lo, exec_lo, s33
	s_wait_loadcnt 0x0
	v_sub_f32_e32 v6, v24, v6
                                        ; implicit-def: $vgpr26
                                        ; implicit-def: $vgpr22
                                        ; implicit-def: $vgpr24
	global_store_b32 v[28:29], v6, off
	global_store_b32 v[30:31], v33, off offset:-4
                                        ; implicit-def: $vgpr28_vgpr29
                                        ; implicit-def: $vgpr30_vgpr31
.LBB58_117:                             ;   in Loop: Header=BB58_74 Depth=2
	s_wait_xcnt 0x0
	s_and_not1_saveexec_b32 s33, s3
	s_cbranch_execz .LBB58_150
; %bb.118:                              ;   in Loop: Header=BB58_74 Depth=2
	s_clause 0x1
	global_load_b32 v32, v26, s[40:41] scale_offset
	global_load_b32 v25, v26, s[18:19] scale_offset
	s_mov_b32 s3, exec_lo
                                        ; implicit-def: $vgpr6
	s_wait_loadcnt 0x1
	v_add_f32_e32 v23, v32, v32
	s_wait_loadcnt 0x0
	v_sub_f32_e32 v27, v25, v24
	s_delay_alu instid0(VALU_DEP_2) | instskip(SKIP_1) | instid1(VALU_DEP_2)
	v_and_b32_e32 v33, 0x7fffffff, v23
	s_wait_xcnt 0x0
	v_cmpx_ngt_f32_e64 |v27|, |v23|
	s_xor_b32 s3, exec_lo, s3
	s_cbranch_execz .LBB58_124
; %bb.119:                              ;   in Loop: Header=BB58_74 Depth=2
	v_cmp_nlt_f32_e64 s1, |v27|, |v23|
                                        ; implicit-def: $vgpr6
	s_and_saveexec_b32 s35, s1
	s_delay_alu instid0(SALU_CYCLE_1)
	s_xor_b32 s1, exec_lo, s35
	s_cbranch_execz .LBB58_121
; %bb.120:                              ;   in Loop: Header=BB58_74 Depth=2
	v_cvt_f64_f32_e32 v[34:35], v33
                                        ; implicit-def: $vgpr33
	s_delay_alu instid0(VALU_DEP_1) | instskip(NEXT) | instid1(VALU_DEP_1)
	v_mul_f64_e32 v[34:35], 0x3ff6a09e667f3bcd, v[34:35]
	v_cvt_f32_f64_e32 v6, v[34:35]
.LBB58_121:                             ;   in Loop: Header=BB58_74 Depth=2
	s_and_not1_saveexec_b32 s35, s1
	s_cbranch_execz .LBB58_123
; %bb.122:                              ;   in Loop: Header=BB58_74 Depth=2
	v_and_b32_e32 v6, 0x7fffffff, v27
	s_delay_alu instid0(VALU_DEP_1) | instskip(SKIP_1) | instid1(VALU_DEP_2)
	v_div_scale_f32 v34, null, v33, v33, v6
	v_div_scale_f32 v6, vcc_lo, v6, v33, v6
	v_rcp_f32_e32 v35, v34
	v_nop
	s_delay_alu instid0(TRANS32_DEP_1) | instskip(NEXT) | instid1(VALU_DEP_1)
	v_fma_f32 v36, -v34, v35, 1.0
	v_fmac_f32_e32 v35, v36, v35
	s_delay_alu instid0(VALU_DEP_1) | instskip(NEXT) | instid1(VALU_DEP_1)
	v_mul_f32_e32 v33, v6, v35
	v_fma_f32 v36, -v34, v33, v6
	s_delay_alu instid0(VALU_DEP_1) | instskip(NEXT) | instid1(VALU_DEP_1)
	v_fmac_f32_e32 v33, v36, v35
	v_fma_f32 v6, -v34, v33, v6
	s_delay_alu instid0(VALU_DEP_1) | instskip(NEXT) | instid1(VALU_DEP_1)
	v_div_fmas_f32 v6, v6, v35, v33
	v_div_fixup_f32 v6, v6, |v23|, |v27|
	s_delay_alu instid0(VALU_DEP_1) | instskip(NEXT) | instid1(VALU_DEP_1)
	v_fma_f32 v6, v6, v6, 1.0
	v_mul_f32_e32 v33, 0x4f800000, v6
	v_cmp_gt_f32_e32 vcc_lo, 0xf800000, v6
	s_delay_alu instid0(VALU_DEP_2) | instskip(NEXT) | instid1(VALU_DEP_1)
	v_cndmask_b32_e32 v6, v6, v33, vcc_lo
	v_sqrt_f32_e32 v33, v6
	v_nop
	s_delay_alu instid0(TRANS32_DEP_1) | instskip(NEXT) | instid1(VALU_DEP_1)
	v_dual_add_nc_u32 v34, -1, v33 :: v_dual_add_nc_u32 v35, 1, v33
	v_dual_fma_f32 v36, -v34, v33, v6 :: v_dual_fma_f32 v37, -v35, v33, v6
	s_delay_alu instid0(VALU_DEP_1) | instskip(NEXT) | instid1(VALU_DEP_1)
	v_cmp_ge_f32_e64 s1, 0, v36
	v_cndmask_b32_e64 v33, v33, v34, s1
	s_delay_alu instid0(VALU_DEP_3) | instskip(NEXT) | instid1(VALU_DEP_1)
	v_cmp_lt_f32_e64 s1, 0, v37
	v_cndmask_b32_e64 v33, v33, v35, s1
	s_delay_alu instid0(VALU_DEP_1) | instskip(NEXT) | instid1(VALU_DEP_1)
	v_mul_f32_e32 v34, 0x37800000, v33
	v_cndmask_b32_e32 v33, v33, v34, vcc_lo
	v_cmp_class_f32_e64 vcc_lo, v6, 0x260
	s_delay_alu instid0(VALU_DEP_2) | instskip(NEXT) | instid1(VALU_DEP_1)
	v_cndmask_b32_e32 v6, v33, v6, vcc_lo
	v_mul_f32_e64 v6, |v23|, v6
.LBB58_123:                             ;   in Loop: Header=BB58_74 Depth=2
	s_or_b32 exec_lo, exec_lo, s35
                                        ; implicit-def: $vgpr33
.LBB58_124:                             ;   in Loop: Header=BB58_74 Depth=2
	s_and_not1_saveexec_b32 s3, s3
	s_cbranch_execz .LBB58_126
; %bb.125:                              ;   in Loop: Header=BB58_74 Depth=2
	v_and_b32_e32 v6, 0x7fffffff, v27
	s_delay_alu instid0(VALU_DEP_1) | instskip(SKIP_1) | instid1(VALU_DEP_2)
	v_div_scale_f32 v34, null, v6, v6, v33
	v_div_scale_f32 v6, vcc_lo, v33, v6, v33
	v_rcp_f32_e32 v35, v34
	v_nop
	s_delay_alu instid0(TRANS32_DEP_1) | instskip(NEXT) | instid1(VALU_DEP_1)
	v_fma_f32 v36, -v34, v35, 1.0
	v_fmac_f32_e32 v35, v36, v35
	s_delay_alu instid0(VALU_DEP_1) | instskip(NEXT) | instid1(VALU_DEP_1)
	v_mul_f32_e32 v33, v6, v35
	v_fma_f32 v36, -v34, v33, v6
	s_delay_alu instid0(VALU_DEP_1) | instskip(NEXT) | instid1(VALU_DEP_1)
	v_fmac_f32_e32 v33, v36, v35
	v_fma_f32 v6, -v34, v33, v6
	s_delay_alu instid0(VALU_DEP_1) | instskip(NEXT) | instid1(VALU_DEP_1)
	v_div_fmas_f32 v6, v6, v35, v33
	v_div_fixup_f32 v6, v6, |v27|, |v23|
	s_delay_alu instid0(VALU_DEP_1) | instskip(NEXT) | instid1(VALU_DEP_1)
	v_fma_f32 v6, v6, v6, 1.0
	v_mul_f32_e32 v33, 0x4f800000, v6
	v_cmp_gt_f32_e32 vcc_lo, 0xf800000, v6
	s_delay_alu instid0(VALU_DEP_2) | instskip(NEXT) | instid1(VALU_DEP_1)
	v_cndmask_b32_e32 v6, v6, v33, vcc_lo
	v_sqrt_f32_e32 v33, v6
	v_nop
	s_delay_alu instid0(TRANS32_DEP_1) | instskip(NEXT) | instid1(VALU_DEP_1)
	v_dual_add_nc_u32 v34, -1, v33 :: v_dual_add_nc_u32 v35, 1, v33
	v_dual_fma_f32 v36, -v34, v33, v6 :: v_dual_fma_f32 v37, -v35, v33, v6
	s_delay_alu instid0(VALU_DEP_1) | instskip(NEXT) | instid1(VALU_DEP_1)
	v_cmp_ge_f32_e64 s1, 0, v36
	v_cndmask_b32_e64 v33, v33, v34, s1
	s_delay_alu instid0(VALU_DEP_3) | instskip(NEXT) | instid1(VALU_DEP_1)
	v_cmp_lt_f32_e64 s1, 0, v37
	v_cndmask_b32_e64 v33, v33, v35, s1
	s_delay_alu instid0(VALU_DEP_1) | instskip(NEXT) | instid1(VALU_DEP_1)
	v_mul_f32_e32 v34, 0x37800000, v33
	v_cndmask_b32_e32 v33, v33, v34, vcc_lo
	v_cmp_class_f32_e64 vcc_lo, v6, 0x260
	s_delay_alu instid0(VALU_DEP_2) | instskip(NEXT) | instid1(VALU_DEP_1)
	v_cndmask_b32_e32 v6, v33, v6, vcc_lo
	v_mul_f32_e64 v6, |v27|, v6
.LBB58_126:                             ;   in Loop: Header=BB58_74 Depth=2
	s_or_b32 exec_lo, exec_lo, s3
	v_cmp_gt_f32_e64 vcc_lo, |v25|, |v24|
	v_add_f32_e32 v35, v24, v25
	s_mov_b32 s1, exec_lo
	v_dual_cndmask_b32 v34, v25, v24, vcc_lo :: v_dual_cndmask_b32 v36, v24, v25, vcc_lo
                                        ; implicit-def: $vgpr24_vgpr25
	s_delay_alu instid0(VALU_DEP_2)
	v_cmpx_ngt_f32_e32 0, v35
	s_xor_b32 s3, exec_lo, s1
	s_cbranch_execz .LBB58_132
; %bb.127:                              ;   in Loop: Header=BB58_74 Depth=2
	s_mov_b32 s1, exec_lo
                                        ; implicit-def: $vgpr24_vgpr25
	v_cmpx_nlt_f32_e32 0, v35
	s_xor_b32 s1, exec_lo, s1
; %bb.128:                              ;   in Loop: Header=BB58_74 Depth=2
	v_pk_mul_f32 v[24:25], v[6:7], v[4:5] op_sel_hi:[0,1]
                                        ; implicit-def: $vgpr35
                                        ; implicit-def: $vgpr36
                                        ; implicit-def: $vgpr34
                                        ; implicit-def: $vgpr32
; %bb.129:                              ;   in Loop: Header=BB58_74 Depth=2
	s_and_not1_saveexec_b32 s35, s1
	s_cbranch_execz .LBB58_131
; %bb.130:                              ;   in Loop: Header=BB58_74 Depth=2
	v_add_f32_e32 v24, v35, v6
	v_cvt_f64_f32_e32 v[36:37], v36
	v_cvt_f64_f32_e32 v[32:33], v32
	;; [unrolled: 1-line block ×3, first 2 shown]
	s_delay_alu instid0(VALU_DEP_4) | instskip(NEXT) | instid1(VALU_DEP_1)
	v_mul_f32_e32 v24, 0.5, v24
	v_cvt_f64_f32_e32 v[38:39], v24
	s_delay_alu instid0(VALU_DEP_1) | instskip(SKIP_2) | instid1(VALU_DEP_3)
	v_div_scale_f64 v[40:41], null, v[38:39], v[38:39], v[36:37]
	v_div_scale_f64 v[42:43], null, v[38:39], v[38:39], v[32:33]
	v_div_scale_f64 v[56:57], vcc_lo, v[36:37], v[38:39], v[36:37]
	v_rcp_f64_e32 v[44:45], v[40:41]
	s_delay_alu instid0(VALU_DEP_2) | instskip(NEXT) | instid1(TRANS32_DEP_2)
	v_rcp_f64_e32 v[46:47], v[42:43]
	v_fma_f64 v[52:53], -v[40:41], v[44:45], 1.0
	s_delay_alu instid0(TRANS32_DEP_1) | instskip(NEXT) | instid1(VALU_DEP_2)
	v_fma_f64 v[54:55], -v[42:43], v[46:47], 1.0
	v_fmac_f64_e32 v[44:45], v[44:45], v[52:53]
	s_delay_alu instid0(VALU_DEP_2) | instskip(NEXT) | instid1(VALU_DEP_2)
	v_fmac_f64_e32 v[46:47], v[46:47], v[54:55]
	v_fma_f64 v[52:53], -v[40:41], v[44:45], 1.0
	s_delay_alu instid0(VALU_DEP_2) | instskip(NEXT) | instid1(VALU_DEP_2)
	v_fma_f64 v[54:55], -v[42:43], v[46:47], 1.0
	v_fmac_f64_e32 v[44:45], v[44:45], v[52:53]
	v_div_scale_f64 v[52:53], s1, v[32:33], v[38:39], v[32:33]
	s_delay_alu instid0(VALU_DEP_3) | instskip(NEXT) | instid1(VALU_DEP_3)
	v_fmac_f64_e32 v[46:47], v[46:47], v[54:55]
	v_mul_f64_e32 v[54:55], v[56:57], v[44:45]
	s_delay_alu instid0(VALU_DEP_2) | instskip(NEXT) | instid1(VALU_DEP_2)
	v_mul_f64_e32 v[58:59], v[52:53], v[46:47]
	v_fma_f64 v[40:41], -v[40:41], v[54:55], v[56:57]
	s_delay_alu instid0(VALU_DEP_2) | instskip(NEXT) | instid1(VALU_DEP_2)
	v_fma_f64 v[42:43], -v[42:43], v[58:59], v[52:53]
	v_div_fmas_f64 v[40:41], v[40:41], v[44:45], v[54:55]
	s_mov_b32 vcc_lo, s1
	s_delay_alu instid0(VALU_DEP_2) | instskip(NEXT) | instid1(VALU_DEP_2)
	v_div_fmas_f64 v[42:43], v[42:43], v[46:47], v[58:59]
	v_div_fixup_f64 v[36:37], v[40:41], v[38:39], v[36:37]
	s_delay_alu instid0(VALU_DEP_2) | instskip(NEXT) | instid1(VALU_DEP_1)
	v_div_fixup_f64 v[42:43], v[42:43], v[38:39], v[32:33]
	v_mul_f64_e32 v[32:33], v[42:43], v[32:33]
	s_delay_alu instid0(VALU_DEP_1) | instskip(NEXT) | instid1(VALU_DEP_1)
	v_fma_f64 v[32:33], v[36:37], v[34:35], -v[32:33]
	v_cvt_f32_f64_e32 v25, v[32:33]
.LBB58_131:                             ;   in Loop: Header=BB58_74 Depth=2
	s_or_b32 exec_lo, exec_lo, s35
                                        ; implicit-def: $vgpr35
                                        ; implicit-def: $vgpr36
                                        ; implicit-def: $vgpr34
                                        ; implicit-def: $vgpr32
.LBB58_132:                             ;   in Loop: Header=BB58_74 Depth=2
	s_or_saveexec_b32 s3, s3
	v_mov_b32_e32 v33, 1
	s_xor_b32 exec_lo, exec_lo, s3
	s_cbranch_execz .LBB58_134
; %bb.133:                              ;   in Loop: Header=BB58_74 Depth=2
	v_sub_f32_e32 v24, v35, v6
	v_cvt_f64_f32_e32 v[36:37], v36
	v_cvt_f64_f32_e32 v[32:33], v32
	;; [unrolled: 1-line block ×3, first 2 shown]
	s_delay_alu instid0(VALU_DEP_4) | instskip(NEXT) | instid1(VALU_DEP_1)
	v_mul_f32_e32 v24, 0.5, v24
	v_cvt_f64_f32_e32 v[38:39], v24
	s_delay_alu instid0(VALU_DEP_1) | instskip(SKIP_2) | instid1(VALU_DEP_3)
	v_div_scale_f64 v[40:41], null, v[38:39], v[38:39], v[36:37]
	v_div_scale_f64 v[42:43], null, v[38:39], v[38:39], v[32:33]
	v_div_scale_f64 v[56:57], vcc_lo, v[36:37], v[38:39], v[36:37]
	v_rcp_f64_e32 v[44:45], v[40:41]
	s_delay_alu instid0(VALU_DEP_2) | instskip(NEXT) | instid1(TRANS32_DEP_2)
	v_rcp_f64_e32 v[46:47], v[42:43]
	v_fma_f64 v[52:53], -v[40:41], v[44:45], 1.0
	s_delay_alu instid0(TRANS32_DEP_1) | instskip(NEXT) | instid1(VALU_DEP_2)
	v_fma_f64 v[54:55], -v[42:43], v[46:47], 1.0
	v_fmac_f64_e32 v[44:45], v[44:45], v[52:53]
	s_delay_alu instid0(VALU_DEP_2) | instskip(NEXT) | instid1(VALU_DEP_2)
	v_fmac_f64_e32 v[46:47], v[46:47], v[54:55]
	v_fma_f64 v[52:53], -v[40:41], v[44:45], 1.0
	s_delay_alu instid0(VALU_DEP_2) | instskip(NEXT) | instid1(VALU_DEP_2)
	v_fma_f64 v[54:55], -v[42:43], v[46:47], 1.0
	v_fmac_f64_e32 v[44:45], v[44:45], v[52:53]
	v_div_scale_f64 v[52:53], s1, v[32:33], v[38:39], v[32:33]
	s_delay_alu instid0(VALU_DEP_3) | instskip(NEXT) | instid1(VALU_DEP_3)
	v_fmac_f64_e32 v[46:47], v[46:47], v[54:55]
	v_mul_f64_e32 v[54:55], v[56:57], v[44:45]
	s_delay_alu instid0(VALU_DEP_2) | instskip(NEXT) | instid1(VALU_DEP_2)
	v_mul_f64_e32 v[58:59], v[52:53], v[46:47]
	v_fma_f64 v[40:41], -v[40:41], v[54:55], v[56:57]
	s_delay_alu instid0(VALU_DEP_2) | instskip(NEXT) | instid1(VALU_DEP_2)
	v_fma_f64 v[42:43], -v[42:43], v[58:59], v[52:53]
	v_div_fmas_f64 v[40:41], v[40:41], v[44:45], v[54:55]
	s_mov_b32 vcc_lo, s1
	s_delay_alu instid0(VALU_DEP_2) | instskip(NEXT) | instid1(VALU_DEP_2)
	v_div_fmas_f64 v[42:43], v[42:43], v[46:47], v[58:59]
	v_div_fixup_f64 v[36:37], v[40:41], v[38:39], v[36:37]
	s_delay_alu instid0(VALU_DEP_2) | instskip(NEXT) | instid1(VALU_DEP_1)
	v_div_fixup_f64 v[42:43], v[42:43], v[38:39], v[32:33]
	v_mul_f64_e32 v[32:33], v[42:43], v[32:33]
	s_delay_alu instid0(VALU_DEP_1) | instskip(NEXT) | instid1(VALU_DEP_1)
	v_fma_f64 v[32:33], v[36:37], v[34:35], -v[32:33]
	v_cvt_f32_f64_e32 v25, v[32:33]
	v_mov_b32_e32 v33, -1
.LBB58_134:                             ;   in Loop: Header=BB58_74 Depth=2
	s_or_b32 exec_lo, exec_lo, s3
	v_cmp_nle_f32_e64 s1, 0, v27
	s_mov_b32 s35, exec_lo
                                        ; implicit-def: $vgpr32
                                        ; implicit-def: $vgpr34
	v_cndmask_b32_e64 v6, v6, -v6, s1
	s_delay_alu instid0(VALU_DEP_1) | instskip(NEXT) | instid1(VALU_DEP_1)
	v_add_f32_e32 v6, v27, v6
	v_cmpx_ngt_f32_e64 |v6|, |v23|
	s_xor_b32 s35, exec_lo, s35
	s_cbranch_execz .LBB58_138
; %bb.135:                              ;   in Loop: Header=BB58_74 Depth=2
	v_dual_mov_b32 v32, 0 :: v_dual_mov_b32 v34, 1.0
	s_mov_b32 s70, exec_lo
	v_cmpx_neq_f32_e32 0, v23
	s_cbranch_execz .LBB58_137
; %bb.136:                              ;   in Loop: Header=BB58_74 Depth=2
	v_div_scale_f32 v27, null, v23, v23, -v6
	v_div_scale_f32 v35, vcc_lo, -v6, v23, -v6
	s_delay_alu instid0(VALU_DEP_2) | instskip(SKIP_1) | instid1(TRANS32_DEP_1)
	v_rcp_f32_e32 v32, v27
	v_nop
	v_fma_f32 v34, -v27, v32, 1.0
	s_delay_alu instid0(VALU_DEP_1) | instskip(NEXT) | instid1(VALU_DEP_1)
	v_fmac_f32_e32 v32, v34, v32
	v_mul_f32_e32 v34, v35, v32
	s_delay_alu instid0(VALU_DEP_1) | instskip(NEXT) | instid1(VALU_DEP_1)
	v_fma_f32 v36, -v27, v34, v35
	v_fmac_f32_e32 v34, v36, v32
	s_delay_alu instid0(VALU_DEP_1) | instskip(NEXT) | instid1(VALU_DEP_1)
	v_fma_f32 v27, -v27, v34, v35
	v_div_fmas_f32 v27, v27, v32, v34
	s_delay_alu instid0(VALU_DEP_1) | instskip(NEXT) | instid1(VALU_DEP_1)
	v_div_fixup_f32 v6, v27, v23, -v6
	v_fma_f32 v23, v6, v6, 1.0
	s_delay_alu instid0(VALU_DEP_1) | instskip(SKIP_1) | instid1(VALU_DEP_2)
	v_mul_f32_e32 v27, 0x4f800000, v23
	v_cmp_gt_f32_e32 vcc_lo, 0xf800000, v23
	v_cndmask_b32_e32 v23, v23, v27, vcc_lo
	s_delay_alu instid0(VALU_DEP_1) | instskip(SKIP_1) | instid1(TRANS32_DEP_1)
	v_sqrt_f32_e32 v27, v23
	v_nop
	v_dual_add_nc_u32 v32, -1, v27 :: v_dual_add_nc_u32 v34, 1, v27
	s_delay_alu instid0(VALU_DEP_1) | instskip(NEXT) | instid1(VALU_DEP_1)
	v_dual_fma_f32 v35, -v32, v27, v23 :: v_dual_fma_f32 v36, -v34, v27, v23
	v_cmp_ge_f32_e64 s3, 0, v35
	s_delay_alu instid0(VALU_DEP_1) | instskip(NEXT) | instid1(VALU_DEP_3)
	v_cndmask_b32_e64 v27, v27, v32, s3
	v_cmp_lt_f32_e64 s3, 0, v36
	s_delay_alu instid0(VALU_DEP_1) | instskip(NEXT) | instid1(VALU_DEP_1)
	v_cndmask_b32_e64 v27, v27, v34, s3
	v_mul_f32_e32 v32, 0x37800000, v27
	s_delay_alu instid0(VALU_DEP_1) | instskip(SKIP_1) | instid1(VALU_DEP_2)
	v_cndmask_b32_e32 v27, v27, v32, vcc_lo
	v_cmp_class_f32_e64 vcc_lo, v23, 0x260
	v_cndmask_b32_e32 v23, v27, v23, vcc_lo
	s_delay_alu instid0(VALU_DEP_1) | instskip(NEXT) | instid1(VALU_DEP_1)
	v_div_scale_f32 v27, null, v23, v23, 1.0
	v_rcp_f32_e32 v32, v27
	v_nop
	s_delay_alu instid0(TRANS32_DEP_1) | instskip(NEXT) | instid1(VALU_DEP_1)
	v_fma_f32 v34, -v27, v32, 1.0
	v_fmac_f32_e32 v32, v34, v32
	v_div_scale_f32 v34, vcc_lo, 1.0, v23, 1.0
	s_delay_alu instid0(VALU_DEP_1) | instskip(NEXT) | instid1(VALU_DEP_1)
	v_mul_f32_e32 v35, v34, v32
	v_fma_f32 v36, -v27, v35, v34
	s_delay_alu instid0(VALU_DEP_1) | instskip(NEXT) | instid1(VALU_DEP_1)
	v_fmac_f32_e32 v35, v36, v32
	v_fma_f32 v27, -v27, v35, v34
	s_delay_alu instid0(VALU_DEP_1) | instskip(NEXT) | instid1(VALU_DEP_1)
	v_div_fmas_f32 v27, v27, v32, v35
	v_div_fixup_f32 v34, v27, v23, 1.0
	s_delay_alu instid0(VALU_DEP_1)
	v_mul_f32_e32 v32, v6, v34
.LBB58_137:                             ;   in Loop: Header=BB58_74 Depth=2
	s_or_b32 exec_lo, exec_lo, s70
                                        ; implicit-def: $vgpr6
                                        ; implicit-def: $vgpr23
.LBB58_138:                             ;   in Loop: Header=BB58_74 Depth=2
	s_and_not1_saveexec_b32 s35, s35
	s_cbranch_execz .LBB58_140
; %bb.139:                              ;   in Loop: Header=BB58_74 Depth=2
	v_div_scale_f32 v27, null, v6, v6, -v23
	v_div_scale_f32 v35, vcc_lo, -v23, v6, -v23
	s_delay_alu instid0(VALU_DEP_2) | instskip(SKIP_1) | instid1(TRANS32_DEP_1)
	v_rcp_f32_e32 v32, v27
	v_nop
	v_fma_f32 v34, -v27, v32, 1.0
	s_delay_alu instid0(VALU_DEP_1) | instskip(NEXT) | instid1(VALU_DEP_1)
	v_fmac_f32_e32 v32, v34, v32
	v_mul_f32_e32 v34, v35, v32
	s_delay_alu instid0(VALU_DEP_1) | instskip(NEXT) | instid1(VALU_DEP_1)
	v_fma_f32 v36, -v27, v34, v35
	v_fmac_f32_e32 v34, v36, v32
	s_delay_alu instid0(VALU_DEP_1) | instskip(NEXT) | instid1(VALU_DEP_1)
	v_fma_f32 v27, -v27, v34, v35
	v_div_fmas_f32 v27, v27, v32, v34
	s_delay_alu instid0(VALU_DEP_1) | instskip(NEXT) | instid1(VALU_DEP_1)
	v_div_fixup_f32 v6, v27, v6, -v23
	v_fma_f32 v23, v6, v6, 1.0
	s_delay_alu instid0(VALU_DEP_1) | instskip(SKIP_1) | instid1(VALU_DEP_2)
	v_mul_f32_e32 v27, 0x4f800000, v23
	v_cmp_gt_f32_e32 vcc_lo, 0xf800000, v23
	v_cndmask_b32_e32 v23, v23, v27, vcc_lo
	s_delay_alu instid0(VALU_DEP_1) | instskip(SKIP_1) | instid1(TRANS32_DEP_1)
	v_sqrt_f32_e32 v27, v23
	v_nop
	v_dual_add_nc_u32 v32, -1, v27 :: v_dual_add_nc_u32 v34, 1, v27
	s_delay_alu instid0(VALU_DEP_1) | instskip(NEXT) | instid1(VALU_DEP_1)
	v_dual_fma_f32 v35, -v32, v27, v23 :: v_dual_fma_f32 v36, -v34, v27, v23
	v_cmp_ge_f32_e64 s3, 0, v35
	s_delay_alu instid0(VALU_DEP_1) | instskip(NEXT) | instid1(VALU_DEP_3)
	v_cndmask_b32_e64 v27, v27, v32, s3
	v_cmp_lt_f32_e64 s3, 0, v36
	s_delay_alu instid0(VALU_DEP_1) | instskip(NEXT) | instid1(VALU_DEP_1)
	v_cndmask_b32_e64 v27, v27, v34, s3
	v_mul_f32_e32 v32, 0x37800000, v27
	s_delay_alu instid0(VALU_DEP_1) | instskip(SKIP_1) | instid1(VALU_DEP_2)
	v_cndmask_b32_e32 v27, v27, v32, vcc_lo
	v_cmp_class_f32_e64 vcc_lo, v23, 0x260
	v_cndmask_b32_e32 v23, v27, v23, vcc_lo
	s_delay_alu instid0(VALU_DEP_1) | instskip(NEXT) | instid1(VALU_DEP_1)
	v_div_scale_f32 v27, null, v23, v23, 1.0
	v_rcp_f32_e32 v32, v27
	v_nop
	s_delay_alu instid0(TRANS32_DEP_1) | instskip(NEXT) | instid1(VALU_DEP_1)
	v_fma_f32 v34, -v27, v32, 1.0
	v_fmac_f32_e32 v32, v34, v32
	v_div_scale_f32 v34, vcc_lo, 1.0, v23, 1.0
	s_delay_alu instid0(VALU_DEP_1) | instskip(NEXT) | instid1(VALU_DEP_1)
	v_mul_f32_e32 v35, v34, v32
	v_fma_f32 v36, -v27, v35, v34
	s_delay_alu instid0(VALU_DEP_1) | instskip(NEXT) | instid1(VALU_DEP_1)
	v_fmac_f32_e32 v35, v36, v32
	v_fma_f32 v27, -v27, v35, v34
	s_delay_alu instid0(VALU_DEP_1) | instskip(NEXT) | instid1(VALU_DEP_1)
	v_div_fmas_f32 v27, v27, v32, v35
	v_div_fixup_f32 v32, v27, v23, 1.0
	s_delay_alu instid0(VALU_DEP_1)
	v_mul_f32_e32 v34, v6, v32
.LBB58_140:                             ;   in Loop: Header=BB58_74 Depth=2
	s_or_b32 exec_lo, exec_lo, s35
	v_cndmask_b32_e64 v6, 1, -1, s1
	v_add_nc_u32_e32 v22, -2, v22
	v_lshl_add_u64 v[30:31], v[30:31], 2, s[40:41]
	s_delay_alu instid0(VALU_DEP_3) | instskip(SKIP_1) | instid1(VALU_DEP_1)
	v_cmp_eq_u32_e32 vcc_lo, v33, v6
	v_dual_ashrrev_i32 v27, 31, v26 :: v_dual_cndmask_b32 v6, v34, -v32, vcc_lo
	v_lshl_add_u64 v[26:27], v[26:27], 2, s[44:45]
	v_cndmask_b32_e32 v23, v32, v34, vcc_lo
	s_delay_alu instid0(VALU_DEP_2)
	v_lshl_add_u64 v[32:33], s[6:7], 2, v[26:27]
	s_clause 0x1
	global_store_b32 v[26:27], v6, off
	global_store_b32 v[32:33], v23, off offset:-4
	global_store_b64 v[28:29], v[24:25], off offset:-4
	global_store_b32 v[30:31], v48, off offset:-4
	ds_store_b32 v48, v22
	s_wait_xcnt 0x0
	s_or_b32 exec_lo, exec_lo, s33
                                        ; implicit-def: $vgpr6
.LBB58_141:                             ;   in Loop: Header=BB58_74 Depth=2
	s_and_not1_saveexec_b32 s1, s31
.LBB58_142:                             ;   in Loop: Header=BB58_74 Depth=2
	ds_store_b32 v48, v6
.LBB58_143:                             ;   in Loop: Header=BB58_74 Depth=2
	s_or_b32 exec_lo, exec_lo, s1
.LBB58_144:                             ;   in Loop: Header=BB58_74 Depth=2
	s_delay_alu instid0(SALU_CYCLE_1)
	s_or_b32 exec_lo, exec_lo, s4
	s_wait_storecnt_dscnt 0x0
	s_barrier_signal -1
	s_barrier_wait -1
	ds_load_b64 v[22:23], v48
	s_wait_dscnt 0x0
	v_readfirstlane_b32 s72, v23
	s_delay_alu instid0(VALU_DEP_1)
	v_cmp_eq_u32_e32 vcc_lo, s72, v22
	v_mov_b32_e32 v22, s72
	s_cbranch_vccnz .LBB58_73
; %bb.145:                              ;   in Loop: Header=BB58_74 Depth=2
	s_and_saveexec_b32 s1, s0
	s_cbranch_execz .LBB58_72
; %bb.146:                              ;   in Loop: Header=BB58_74 Depth=2
	ds_load_b32 v6, v48 offset:16
	s_mul_i32 s74, s72, s11
	s_ashr_i32 s73, s72, 31
	s_ashr_i32 s75, s74, 31
	s_lshl_b64 s[70:71], s[72:73], 2
	s_lshl_b64 s[76:77], s[74:75], 3
	v_mov_b32_e32 v24, v0
	v_add_nc_u64_e32 v[22:23], s[76:77], v[2:3]
	s_add_nc_u64 s[74:75], s[42:43], s[76:77]
	s_add_nc_u64 s[70:71], s[44:45], s[70:71]
	s_mov_b32 s4, 0
	s_wait_dscnt 0x0
	v_readfirstlane_b32 s3, v6
	s_sub_co_i32 s72, s3, s72
	s_delay_alu instid0(SALU_CYCLE_1) | instskip(SKIP_2) | instid1(SALU_CYCLE_1)
	s_cmp_gt_i32 s72, 0
	s_cselect_b32 s3, -1, 0
	s_ashr_i32 s73, s72, 31
	s_mul_u64 s[76:77], s[72:73], s[46:47]
	s_delay_alu instid0(SALU_CYCLE_1) | instskip(NEXT) | instid1(SALU_CYCLE_1)
	s_lshl_b64 s[76:77], s[76:77], 3
	s_add_nc_u64 s[76:77], s[74:75], s[76:77]
	s_branch .LBB58_148
.LBB58_147:                             ;   in Loop: Header=BB58_148 Depth=3
	v_ashrrev_i32_e32 v25, 31, v24
	v_add_nc_u64_e32 v[22:23], s[64:65], v[22:23]
	s_delay_alu instid0(VALU_DEP_2)
	v_lshl_add_u64 v[28:29], v[24:25], 3, s[76:77]
	s_wait_xcnt 0x0
	v_add_nc_u32_e32 v24, s30, v24
	s_wait_loadcnt 0x0
	global_store_b64 v[28:29], v[26:27], off
	v_cmp_le_i32_e32 vcc_lo, s6, v24
	s_or_b32 s4, vcc_lo, s4
	s_wait_xcnt 0x0
	s_and_not1_b32 exec_lo, exec_lo, s4
	s_cbranch_execz .LBB58_72
.LBB58_148:                             ;   Parent Loop BB58_7 Depth=1
                                        ;     Parent Loop BB58_74 Depth=2
                                        ; =>    This Loop Header: Depth=3
                                        ;         Child Loop BB58_149 Depth 4
	global_load_b64 v[26:27], v24, s[74:75] scale_offset
	v_mov_b64_e32 v[28:29], v[22:23]
	s_and_not1_b32 vcc_lo, exec_lo, s3
	s_mov_b64 s[78:79], s[70:71]
	s_mov_b32 s31, s72
	s_cbranch_vccnz .LBB58_147
.LBB58_149:                             ;   Parent Loop BB58_7 Depth=1
                                        ;     Parent Loop BB58_74 Depth=2
                                        ;       Parent Loop BB58_148 Depth=3
                                        ; =>      This Inner Loop Header: Depth=4
	s_delay_alu instid0(VALU_DEP_1)
	v_add_nc_u64_e32 v[30:31], s[62:63], v[28:29]
	s_add_nc_u64 s[80:81], s[78:79], s[60:61]
	s_add_co_i32 s31, s31, -1
	global_load_b64 v[32:33], v[30:31], off
	s_clause 0x1
	global_load_b32 v6, v48, s[80:81]
	global_load_b32 v34, v48, s[78:79]
	s_cmp_eq_u32 s31, 0
	s_wait_xcnt 0x0
	s_add_nc_u64 s[78:79], s[78:79], 4
	s_wait_loadcnt 0x1
	v_pk_mul_f32 v[36:37], v[6:7], v[32:33] op_sel_hi:[0,1]
	v_pk_mul_f32 v[38:39], v[26:27], v[6:7] op_sel_hi:[1,0]
	s_wait_loadcnt 0x0
	s_delay_alu instid0(VALU_DEP_2) | instskip(NEXT) | instid1(VALU_DEP_2)
	v_pk_fma_f32 v[36:37], v[26:27], v[34:35], v[36:37] op_sel_hi:[1,0,1]
	v_pk_fma_f32 v[26:27], v[34:35], v[32:33], v[38:39] op_sel_hi:[0,1,1] neg_lo:[0,0,1] neg_hi:[0,0,1]
	global_store_b64 v[28:29], v[36:37], off
	s_wait_xcnt 0x0
	v_mov_b64_e32 v[28:29], v[30:31]
	s_cbranch_scc0 .LBB58_149
	s_branch .LBB58_147
.LBB58_150:                             ;   in Loop: Header=BB58_74 Depth=2
	s_or_b32 exec_lo, exec_lo, s33
                                        ; implicit-def: $vgpr6
	s_and_not1_saveexec_b32 s1, s31
	s_cbranch_execnz .LBB58_142
	s_branch .LBB58_143
.LBB58_151:                             ;   in Loop: Header=BB58_153 Depth=2
	s_or_b32 exec_lo, exec_lo, s3
	s_wait_storecnt 0x0
	s_barrier_signal -1
	s_barrier_wait -1
	ds_load_b32 v30, v48
.LBB58_152:                             ;   in Loop: Header=BB58_153 Depth=2
	ds_load_2addr_b32 v[38:39], v48 offset0:5 offset1:7
	s_wait_dscnt 0x0
	v_cmp_le_i32_e32 vcc_lo, v30, v38
	v_cmp_gt_i32_e64 s3, s24, v39
	s_and_b32 s3, vcc_lo, s3
	s_delay_alu instid0(SALU_CYCLE_1)
	s_and_not1_b32 vcc_lo, exec_lo, s3
	s_cbranch_vccnz .LBB58_56
.LBB58_153:                             ;   Parent Loop BB58_7 Depth=1
                                        ; =>  This Loop Header: Depth=2
                                        ;       Child Loop BB58_159 Depth 3
                                        ;       Child Loop BB58_179 Depth 3
                                        ;       Child Loop BB58_226 Depth 3
                                        ;         Child Loop BB58_227 Depth 4
	s_and_saveexec_b32 s31, s2
	s_cbranch_execz .LBB58_222
; %bb.154:                              ;   in Loop: Header=BB58_153 Depth=2
	v_cmp_lt_i32_e32 vcc_lo, v30, v38
	s_mov_b32 s3, 0
	s_cbranch_vccnz .LBB58_156
; %bb.155:                              ;   in Loop: Header=BB58_153 Depth=2
	v_ashrrev_i32_e32 v31, 31, v30
	s_mov_b32 s4, -1
	s_delay_alu instid0(VALU_DEP_1)
	v_mov_b64_e32 v[36:37], v[30:31]
	v_mov_b32_e32 v34, v30
	s_cbranch_execz .LBB58_157
	s_branch .LBB58_162
.LBB58_156:                             ;   in Loop: Header=BB58_153 Depth=2
	s_mov_b32 s4, 0
                                        ; implicit-def: $vgpr36_vgpr37
	v_mov_b32_e32 v34, v30
.LBB58_157:                             ;   in Loop: Header=BB58_153 Depth=2
	v_dual_mov_b32 v6, v30 :: v_dual_ashrrev_i32 v31, 31, v30
	s_delay_alu instid0(VALU_DEP_1) | instskip(NEXT) | instid1(VALU_DEP_1)
	v_lshlrev_b64_e32 v[26:27], 2, v[30:31]
	v_add_nc_u64_e32 v[32:33], s[40:41], v[26:27]
	v_add_nc_u64_e32 v[28:29], s[48:49], v[26:27]
	s_branch .LBB58_159
.LBB58_158:                             ;   in Loop: Header=BB58_159 Depth=3
	s_delay_alu instid0(VALU_DEP_1) | instskip(SKIP_3) | instid1(VALU_DEP_3)
	v_add_nc_u32_e32 v6, 1, v23
	v_add_nc_u64_e32 v[32:33], 4, v[26:27]
	v_add_nc_u64_e32 v[28:29], 4, v[28:29]
	s_mov_b32 s3, 0
	v_cmp_ge_i32_e64 s4, v6, v38
	s_and_not1_b32 vcc_lo, exec_lo, s4
	s_cbranch_vccz .LBB58_161
.LBB58_159:                             ;   Parent Loop BB58_7 Depth=1
                                        ;     Parent Loop BB58_153 Depth=2
                                        ; =>    This Inner Loop Header: Depth=3
	s_delay_alu instid0(VALU_DEP_2) | instskip(SKIP_4) | instid1(VALU_DEP_1)
	v_mov_b64_e32 v[26:27], v[32:33]
	global_load_b64 v[32:33], v[28:29], off
	global_load_b32 v23, v[26:27], off
	s_wait_loadcnt 0x0
	v_dual_mul_f32 v32, v32, v33 :: v_dual_mul_f32 v23, v23, v23
	v_and_b32_e32 v32, 0x7fffffff, v32
	s_delay_alu instid0(VALU_DEP_2) | instskip(NEXT) | instid1(VALU_DEP_2)
	v_and_b32_e32 v23, 0x7fffffff, v23
	v_mul_f32_e32 v32, s10, v32
	s_delay_alu instid0(VALU_DEP_1)
	v_cmp_le_f32_e32 vcc_lo, v23, v32
	v_mov_b32_e32 v23, v6
	s_cbranch_vccz .LBB58_158
; %bb.160:                              ;   in Loop: Header=BB58_153 Depth=2
	s_mov_b32 s3, -1
                                        ; implicit-def: $vgpr6
                                        ; implicit-def: $vgpr32_vgpr33
                                        ; implicit-def: $vgpr28_vgpr29
.LBB58_161:                             ;   in Loop: Header=BB58_153 Depth=2
	v_mov_b64_e32 v[28:29], v[30:31]
	v_mov_b64_e32 v[36:37], v[30:31]
	v_mov_b32_e32 v34, v38
	s_xor_b32 s4, s3, -1
	s_mov_b32 s3, -1
.LBB58_162:                             ;   in Loop: Header=BB58_153 Depth=2
	s_and_b32 vcc_lo, exec_lo, s4
	s_cbranch_vccnz .LBB58_191
; %bb.163:                              ;   in Loop: Header=BB58_153 Depth=2
	s_and_not1_b32 vcc_lo, exec_lo, s3
	s_cbranch_vccnz .LBB58_165
.LBB58_164:                             ;   in Loop: Header=BB58_153 Depth=2
	v_mov_b64_e32 v[36:37], v[28:29]
	v_mov_b32_e32 v34, v23
	ds_store_2addr_b32 v48, v23, v30 offset0:1 offset1:4
	global_store_b32 v[26:27], v48, off
.LBB58_165:                             ;   in Loop: Header=BB58_153 Depth=2
	v_lshl_add_u64 v[32:33], v[36:37], 2, s[18:19]
	v_add_nc_u32_e32 v6, 1, v30
	s_mov_b32 s3, exec_lo
	global_load_b32 v38, v[32:33], off
	s_wait_loadcnt 0x0
	ds_store_b32 v48, v38 offset:8
	s_wait_xcnt 0x0
	v_cmpx_ne_u32_e64 v34, v30
	s_xor_b32 s33, exec_lo, s3
	s_cbranch_execz .LBB58_219
; %bb.166:                              ;   in Loop: Header=BB58_153 Depth=2
	s_mov_b32 s3, exec_lo
	v_cmpx_ne_u32_e64 v34, v6
	s_xor_b32 s4, exec_lo, s3
	s_cbranch_execz .LBB58_195
; %bb.167:                              ;   in Loop: Header=BB58_153 Depth=2
	v_lshl_add_u64 v[36:37], v[36:37], 2, s[40:41]
	s_mov_b32 s35, exec_lo
	global_load_b32 v6, v[32:33], off offset:4
	global_load_b32 v35, v[36:37], off
	global_load_b32 v31, v34, s[18:19] scale_offset
	v_add_nc_u32_e32 v39, 1, v39
	ds_store_2addr_b32 v48, v48, v39 offset0:2 offset1:7
	s_wait_loadcnt 0x1
	v_dual_sub_f32 v6, v6, v38 :: v_dual_add_f32 v40, v35, v35
	s_delay_alu instid0(VALU_DEP_1) | instskip(SKIP_1) | instid1(VALU_DEP_2)
	v_div_scale_f32 v41, null, v40, v40, v6
	v_div_scale_f32 v44, vcc_lo, v6, v40, v6
	v_rcp_f32_e32 v42, v41
	v_nop
	s_delay_alu instid0(TRANS32_DEP_1) | instskip(NEXT) | instid1(VALU_DEP_1)
	v_fma_f32 v43, -v41, v42, 1.0
	v_fmac_f32_e32 v42, v43, v42
	s_delay_alu instid0(VALU_DEP_1) | instskip(NEXT) | instid1(VALU_DEP_1)
	v_mul_f32_e32 v43, v44, v42
	v_fma_f32 v45, -v41, v43, v44
	s_delay_alu instid0(VALU_DEP_1) | instskip(NEXT) | instid1(VALU_DEP_1)
	v_fmac_f32_e32 v43, v45, v42
	v_fma_f32 v41, -v41, v43, v44
	s_delay_alu instid0(VALU_DEP_1) | instskip(NEXT) | instid1(VALU_DEP_1)
	v_div_fmas_f32 v41, v41, v42, v43
	v_div_fixup_f32 v6, v41, v40, v6
	s_delay_alu instid0(VALU_DEP_1) | instskip(NEXT) | instid1(VALU_DEP_1)
	v_fma_f32 v40, v6, v6, 1.0
	v_mul_f32_e32 v41, 0x4f800000, v40
	v_cmp_gt_f32_e32 vcc_lo, 0xf800000, v40
	s_delay_alu instid0(VALU_DEP_2) | instskip(NEXT) | instid1(VALU_DEP_1)
	v_cndmask_b32_e32 v40, v40, v41, vcc_lo
	v_sqrt_f32_e32 v41, v40
	v_nop
	s_delay_alu instid0(TRANS32_DEP_1) | instskip(NEXT) | instid1(VALU_DEP_1)
	v_dual_add_nc_u32 v42, -1, v41 :: v_dual_add_nc_u32 v43, 1, v41
	v_fma_f32 v44, -v42, v41, v40
	s_delay_alu instid0(VALU_DEP_1) | instskip(NEXT) | instid1(VALU_DEP_1)
	v_cmp_ge_f32_e64 s3, 0, v44
	v_dual_fma_f32 v45, -v43, v41, v40 :: v_dual_cndmask_b32 v41, v41, v42, s3
	s_delay_alu instid0(VALU_DEP_1) | instskip(NEXT) | instid1(VALU_DEP_1)
	v_cmp_lt_f32_e64 s3, 0, v45
	v_cndmask_b32_e64 v41, v41, v43, s3
	s_delay_alu instid0(VALU_DEP_1) | instskip(NEXT) | instid1(VALU_DEP_1)
	v_mul_f32_e32 v42, 0x37800000, v41
	v_cndmask_b32_e32 v41, v41, v42, vcc_lo
	v_cmp_class_f32_e64 vcc_lo, v40, 0x260
	s_delay_alu instid0(VALU_DEP_2) | instskip(SKIP_1) | instid1(VALU_DEP_2)
	v_cndmask_b32_e32 v40, v41, v40, vcc_lo
	v_cmp_nle_f32_e32 vcc_lo, 0, v6
	v_cndmask_b32_e64 v40, |v40|, -|v40|, vcc_lo
	s_delay_alu instid0(VALU_DEP_1) | instskip(NEXT) | instid1(VALU_DEP_1)
	v_add_f32_e32 v6, v6, v40
	v_div_scale_f32 v40, null, v6, v6, v35
	v_div_scale_f32 v43, vcc_lo, v35, v6, v35
	s_delay_alu instid0(VALU_DEP_2) | instskip(SKIP_1) | instid1(TRANS32_DEP_1)
	v_rcp_f32_e32 v41, v40
	v_nop
	v_fma_f32 v42, -v40, v41, 1.0
	s_delay_alu instid0(VALU_DEP_1) | instskip(NEXT) | instid1(VALU_DEP_1)
	v_fmac_f32_e32 v41, v42, v41
	v_mul_f32_e32 v42, v43, v41
	s_delay_alu instid0(VALU_DEP_1) | instskip(NEXT) | instid1(VALU_DEP_1)
	v_fma_f32 v44, -v40, v42, v43
	v_fmac_f32_e32 v42, v44, v41
	s_delay_alu instid0(VALU_DEP_1) | instskip(NEXT) | instid1(VALU_DEP_1)
	v_fma_f32 v40, -v40, v42, v43
	v_div_fmas_f32 v40, v40, v41, v42
	s_wait_loadcnt 0x0
	v_sub_f32_e32 v41, v31, v38
	s_delay_alu instid0(VALU_DEP_2) | instskip(NEXT) | instid1(VALU_DEP_1)
	v_div_fixup_f32 v35, v40, v6, v35
	v_dual_mov_b32 v6, 0 :: v_dual_add_f32 v41, v41, v35
	s_wait_xcnt 0x0
	v_cmpx_gt_i32_e64 v34, v30
	s_cbranch_execz .LBB58_194
; %bb.168:                              ;   in Loop: Header=BB58_153 Depth=2
	v_ashrrev_i32_e32 v35, 31, v34
	s_mov_b32 s70, exec_lo
	s_delay_alu instid0(VALU_DEP_1)
	v_lshl_add_u64 v[38:39], v[34:35], 2, s[40:41]
	global_load_b32 v40, v[38:39], off offset:-4
	s_wait_xcnt 0x0
	v_dual_mov_b32 v38, 0 :: v_dual_mov_b32 v39, 1.0
	s_wait_loadcnt 0x0
	v_cmpx_neq_f32_e32 0, v40
	s_cbranch_execz .LBB58_176
; %bb.169:                              ;   in Loop: Header=BB58_153 Depth=2
	v_dual_mov_b32 v39, 0 :: v_dual_mov_b32 v38, 1.0
	s_mov_b32 s71, exec_lo
	v_cmpx_neq_f32_e32 0, v41
	s_cbranch_execz .LBB58_175
; %bb.170:                              ;   in Loop: Header=BB58_153 Depth=2
	s_mov_b32 s72, exec_lo
                                        ; implicit-def: $vgpr39
	v_cmpx_ngt_f32_e64 |v40|, |v41|
	s_xor_b32 s72, exec_lo, s72
	s_cbranch_execz .LBB58_172
; %bb.171:                              ;   in Loop: Header=BB58_153 Depth=2
	v_div_scale_f32 v6, null, v41, v41, -v40
	v_div_scale_f32 v42, vcc_lo, -v40, v41, -v40
	s_delay_alu instid0(VALU_DEP_2) | instskip(SKIP_1) | instid1(TRANS32_DEP_1)
	v_rcp_f32_e32 v38, v6
	v_nop
	v_fma_f32 v39, -v6, v38, 1.0
	s_delay_alu instid0(VALU_DEP_1) | instskip(NEXT) | instid1(VALU_DEP_1)
	v_fmac_f32_e32 v38, v39, v38
	v_mul_f32_e32 v39, v42, v38
	s_delay_alu instid0(VALU_DEP_1) | instskip(NEXT) | instid1(VALU_DEP_1)
	v_fma_f32 v43, -v6, v39, v42
	v_fmac_f32_e32 v39, v43, v38
	s_delay_alu instid0(VALU_DEP_1) | instskip(NEXT) | instid1(VALU_DEP_1)
	v_fma_f32 v6, -v6, v39, v42
	v_div_fmas_f32 v6, v6, v38, v39
	s_delay_alu instid0(VALU_DEP_1) | instskip(NEXT) | instid1(VALU_DEP_1)
	v_div_fixup_f32 v6, v6, v41, -v40
	v_fma_f32 v38, v6, v6, 1.0
	s_delay_alu instid0(VALU_DEP_1) | instskip(SKIP_1) | instid1(VALU_DEP_2)
	v_mul_f32_e32 v39, 0x4f800000, v38
	v_cmp_gt_f32_e32 vcc_lo, 0xf800000, v38
	v_cndmask_b32_e32 v38, v38, v39, vcc_lo
	s_delay_alu instid0(VALU_DEP_1) | instskip(SKIP_1) | instid1(TRANS32_DEP_1)
	v_sqrt_f32_e32 v39, v38
	v_nop
	v_dual_add_nc_u32 v41, -1, v39 :: v_dual_add_nc_u32 v42, 1, v39
	s_delay_alu instid0(VALU_DEP_1) | instskip(NEXT) | instid1(VALU_DEP_1)
	v_dual_fma_f32 v43, -v41, v39, v38 :: v_dual_fma_f32 v44, -v42, v39, v38
	v_cmp_ge_f32_e64 s3, 0, v43
	s_delay_alu instid0(VALU_DEP_1) | instskip(NEXT) | instid1(VALU_DEP_3)
	v_cndmask_b32_e64 v39, v39, v41, s3
	v_cmp_lt_f32_e64 s3, 0, v44
	s_delay_alu instid0(VALU_DEP_1) | instskip(NEXT) | instid1(VALU_DEP_1)
	v_cndmask_b32_e64 v39, v39, v42, s3
	v_mul_f32_e32 v41, 0x37800000, v39
	s_delay_alu instid0(VALU_DEP_1) | instskip(SKIP_1) | instid1(VALU_DEP_2)
	v_cndmask_b32_e32 v39, v39, v41, vcc_lo
	v_cmp_class_f32_e64 vcc_lo, v38, 0x260
	v_cndmask_b32_e32 v38, v39, v38, vcc_lo
	s_delay_alu instid0(VALU_DEP_1) | instskip(NEXT) | instid1(VALU_DEP_1)
	v_div_scale_f32 v39, null, v38, v38, 1.0
	v_rcp_f32_e32 v41, v39
	v_nop
	s_delay_alu instid0(TRANS32_DEP_1) | instskip(NEXT) | instid1(VALU_DEP_1)
	v_fma_f32 v42, -v39, v41, 1.0
	v_fmac_f32_e32 v41, v42, v41
	v_div_scale_f32 v42, vcc_lo, 1.0, v38, 1.0
	s_delay_alu instid0(VALU_DEP_1) | instskip(NEXT) | instid1(VALU_DEP_1)
	v_mul_f32_e32 v43, v42, v41
	v_fma_f32 v44, -v39, v43, v42
	s_delay_alu instid0(VALU_DEP_1) | instskip(NEXT) | instid1(VALU_DEP_1)
	v_fmac_f32_e32 v43, v44, v41
	v_fma_f32 v39, -v39, v43, v42
	s_delay_alu instid0(VALU_DEP_1) | instskip(NEXT) | instid1(VALU_DEP_1)
	v_div_fmas_f32 v39, v39, v41, v43
                                        ; implicit-def: $vgpr41
	v_div_fixup_f32 v39, v39, v38, 1.0
	s_delay_alu instid0(VALU_DEP_1)
	v_mul_f32_e32 v38, v6, v39
.LBB58_172:                             ;   in Loop: Header=BB58_153 Depth=2
	s_and_not1_saveexec_b32 s72, s72
	s_cbranch_execz .LBB58_174
; %bb.173:                              ;   in Loop: Header=BB58_153 Depth=2
	v_div_scale_f32 v6, null, v40, v40, -v41
	v_div_scale_f32 v42, vcc_lo, -v41, v40, -v41
	s_delay_alu instid0(VALU_DEP_2) | instskip(SKIP_1) | instid1(TRANS32_DEP_1)
	v_rcp_f32_e32 v38, v6
	v_nop
	v_fma_f32 v39, -v6, v38, 1.0
	s_delay_alu instid0(VALU_DEP_1) | instskip(NEXT) | instid1(VALU_DEP_1)
	v_fmac_f32_e32 v38, v39, v38
	v_mul_f32_e32 v39, v42, v38
	s_delay_alu instid0(VALU_DEP_1) | instskip(NEXT) | instid1(VALU_DEP_1)
	v_fma_f32 v43, -v6, v39, v42
	v_fmac_f32_e32 v39, v43, v38
	s_delay_alu instid0(VALU_DEP_1) | instskip(NEXT) | instid1(VALU_DEP_1)
	v_fma_f32 v6, -v6, v39, v42
	v_div_fmas_f32 v6, v6, v38, v39
	s_delay_alu instid0(VALU_DEP_1) | instskip(NEXT) | instid1(VALU_DEP_1)
	v_div_fixup_f32 v6, v6, v40, -v41
	v_fma_f32 v38, v6, v6, 1.0
	s_delay_alu instid0(VALU_DEP_1) | instskip(SKIP_1) | instid1(VALU_DEP_2)
	v_mul_f32_e32 v39, 0x4f800000, v38
	v_cmp_gt_f32_e32 vcc_lo, 0xf800000, v38
	v_cndmask_b32_e32 v38, v38, v39, vcc_lo
	s_delay_alu instid0(VALU_DEP_1) | instskip(SKIP_1) | instid1(TRANS32_DEP_1)
	v_sqrt_f32_e32 v39, v38
	v_nop
	v_dual_add_nc_u32 v41, -1, v39 :: v_dual_add_nc_u32 v42, 1, v39
	s_delay_alu instid0(VALU_DEP_1) | instskip(NEXT) | instid1(VALU_DEP_1)
	v_dual_fma_f32 v43, -v41, v39, v38 :: v_dual_fma_f32 v44, -v42, v39, v38
	v_cmp_ge_f32_e64 s3, 0, v43
	s_delay_alu instid0(VALU_DEP_1) | instskip(NEXT) | instid1(VALU_DEP_3)
	v_cndmask_b32_e64 v39, v39, v41, s3
	v_cmp_lt_f32_e64 s3, 0, v44
	s_delay_alu instid0(VALU_DEP_1) | instskip(NEXT) | instid1(VALU_DEP_1)
	v_cndmask_b32_e64 v39, v39, v42, s3
	v_mul_f32_e32 v41, 0x37800000, v39
	s_delay_alu instid0(VALU_DEP_1) | instskip(SKIP_1) | instid1(VALU_DEP_2)
	v_cndmask_b32_e32 v39, v39, v41, vcc_lo
	v_cmp_class_f32_e64 vcc_lo, v38, 0x260
	v_cndmask_b32_e32 v38, v39, v38, vcc_lo
	s_delay_alu instid0(VALU_DEP_1) | instskip(NEXT) | instid1(VALU_DEP_1)
	v_div_scale_f32 v39, null, v38, v38, 1.0
	v_rcp_f32_e32 v41, v39
	v_nop
	s_delay_alu instid0(TRANS32_DEP_1) | instskip(NEXT) | instid1(VALU_DEP_1)
	v_fma_f32 v42, -v39, v41, 1.0
	v_fmac_f32_e32 v41, v42, v41
	v_div_scale_f32 v42, vcc_lo, 1.0, v38, 1.0
	s_delay_alu instid0(VALU_DEP_1) | instskip(NEXT) | instid1(VALU_DEP_1)
	v_mul_f32_e32 v43, v42, v41
	v_fma_f32 v44, -v39, v43, v42
	s_delay_alu instid0(VALU_DEP_1) | instskip(NEXT) | instid1(VALU_DEP_1)
	v_fmac_f32_e32 v43, v44, v41
	v_fma_f32 v39, -v39, v43, v42
	s_delay_alu instid0(VALU_DEP_1) | instskip(NEXT) | instid1(VALU_DEP_1)
	v_div_fmas_f32 v39, v39, v41, v43
	v_div_fixup_f32 v38, v39, v38, 1.0
	s_delay_alu instid0(VALU_DEP_1)
	v_mul_f32_e32 v39, v6, v38
.LBB58_174:                             ;   in Loop: Header=BB58_153 Depth=2
	s_or_b32 exec_lo, exec_lo, s72
.LBB58_175:                             ;   in Loop: Header=BB58_153 Depth=2
	s_delay_alu instid0(SALU_CYCLE_1)
	s_or_b32 exec_lo, exec_lo, s71
.LBB58_176:                             ;   in Loop: Header=BB58_153 Depth=2
	s_delay_alu instid0(SALU_CYCLE_1)
	s_or_b32 exec_lo, exec_lo, s70
	v_lshl_add_u64 v[44:45], v[34:35], 2, s[18:19]
	v_lshl_add_u64 v[46:47], v[34:35], 2, s[44:45]
	s_mov_b32 s78, exec_lo
	global_load_b32 v6, v[44:45], off offset:-4
	v_add_nc_u64_e32 v[52:53], -4, v[46:47]
	s_delay_alu instid0(VALU_DEP_1) | instskip(SKIP_2) | instid1(VALU_DEP_1)
	v_lshl_add_u64 v[52:53], s[6:7], 2, v[52:53]
	s_wait_loadcnt 0x0
	v_sub_f32_e32 v6, v6, v31
	v_pk_mul_f32 v[42:43], v[38:39], v[6:7]
	s_delay_alu instid0(VALU_DEP_1) | instskip(NEXT) | instid1(VALU_DEP_1)
	v_dual_fma_f32 v35, v40, v43, -v42 :: v_dual_add_nc_u32 v42, -1, v34
	v_dual_mul_f32 v6, v35, -v38 :: v_dual_fma_f32 v31, v35, -v38, v31
	v_fma_f32 v41, v39, v35, -v40
	ds_store_b32 v48, v6 offset:8
	global_store_b32 v[44:45], v31, off
	s_clause 0x1
	global_store_b32 v[46:47], v39, off offset:-4
	global_store_b32 v[52:53], v38, off offset:-4
	s_wait_xcnt 0x0
	v_cmpx_gt_i32_e64 v42, v30
	s_cbranch_execz .LBB58_193
; %bb.177:                              ;   in Loop: Header=BB58_153 Depth=2
	v_ashrrev_i32_e32 v43, 31, v42
	v_xor_b32_e32 v35, 0x80000000, v38
	s_mov_b32 s80, -1
	s_mov_b32 s79, 0
	s_mov_b64 s[70:71], s[58:59]
	v_lshlrev_b64_e32 v[42:43], 2, v[42:43]
	s_mov_b64 s[72:73], s[18:19]
	s_mov_b64 s[74:75], s[56:57]
	;; [unrolled: 1-line block ×3, first 2 shown]
	s_branch .LBB58_179
.LBB58_178:                             ;   in Loop: Header=BB58_179 Depth=3
	s_wait_xcnt 0x0
	v_add_nc_u64_e32 v[44:45], s[72:73], v[42:43]
	s_add_co_i32 s80, s80, -1
	v_add_nc_u64_e32 v[52:53], s[74:75], v[42:43]
	v_xor_b32_e32 v35, 0x80000000, v46
	v_add_nc_u64_e32 v[54:55], s[76:77], v[42:43]
	s_add_nc_u64 s[76:77], s[76:77], -4
	s_add_nc_u64 s[74:75], s[74:75], -4
	global_load_b64 v[40:41], v[44:45], off offset:-4
	s_add_nc_u64 s[72:73], s[72:73], -4
	s_add_nc_u64 s[70:71], s[70:71], -4
	s_wait_loadcnt 0x0
	v_dual_mul_f32 v31, v39, v31 :: v_dual_sub_f32 v41, v41, v6
	s_delay_alu instid0(VALU_DEP_1) | instskip(NEXT) | instid1(VALU_DEP_1)
	v_sub_f32_e32 v6, v40, v41
	v_pk_mul_f32 v[38:39], v[46:47], v[6:7]
	s_delay_alu instid0(VALU_DEP_1) | instskip(SKIP_1) | instid1(VALU_DEP_2)
	v_dual_add_nc_u32 v6, s80, v34 :: v_dual_fma_f32 v38, v31, v39, -v38
	v_mov_b32_e32 v39, v47
	v_cmp_le_i32_e32 vcc_lo, v6, v30
	s_delay_alu instid0(VALU_DEP_3)
	v_dual_fma_f32 v40, v38, -v46, v41 :: v_dual_mul_f32 v6, v38, -v46
	v_fma_f32 v41, v47, v38, -v31
	s_or_b32 s79, vcc_lo, s79
	global_store_b32 v[44:45], v40, off
	global_store_b32 v[52:53], v47, off
	;; [unrolled: 1-line block ×3, first 2 shown]
	s_wait_xcnt 0x0
	s_and_not1_b32 exec_lo, exec_lo, s79
	s_cbranch_execz .LBB58_192
.LBB58_179:                             ;   Parent Loop BB58_7 Depth=1
                                        ;     Parent Loop BB58_153 Depth=2
                                        ; =>    This Inner Loop Header: Depth=3
	s_delay_alu instid0(VALU_DEP_1)
	v_add_nc_u64_e32 v[44:45], s[70:71], v[42:43]
	v_mov_b32_e32 v47, 1.0
	s_mov_b32 s81, exec_lo
	v_mov_b32_e32 v46, 0
	global_load_b32 v31, v[44:45], off
	s_wait_loadcnt 0x0
	v_mul_f32_e32 v40, v35, v31
	s_wait_xcnt 0x0
	s_delay_alu instid0(VALU_DEP_1)
	v_cmpx_neq_f32_e32 0, v40
	s_cbranch_execz .LBB58_189
; %bb.180:                              ;   in Loop: Header=BB58_179 Depth=3
	v_xor_b32_e32 v35, 0x80000000, v40
                                        ; implicit-def: $vgpr47
	s_mov_b32 s3, exec_lo
	v_cmpx_neq_f32_e32 0, v41
	s_xor_b32 s82, exec_lo, s3
	s_cbranch_execz .LBB58_186
; %bb.181:                              ;   in Loop: Header=BB58_179 Depth=3
	s_mov_b32 s83, exec_lo
                                        ; implicit-def: $vgpr47
	v_cmpx_ngt_f32_e64 |v40|, |v41|
	s_xor_b32 s83, exec_lo, s83
	s_cbranch_execz .LBB58_183
; %bb.182:                              ;   in Loop: Header=BB58_179 Depth=3
	v_div_scale_f32 v35, null, v41, v41, -v40
	v_div_scale_f32 v47, vcc_lo, -v40, v41, -v40
	s_delay_alu instid0(VALU_DEP_2) | instskip(SKIP_1) | instid1(TRANS32_DEP_1)
	v_rcp_f32_e32 v38, v35
	v_nop
	v_fma_f32 v46, -v35, v38, 1.0
	s_delay_alu instid0(VALU_DEP_1) | instskip(NEXT) | instid1(VALU_DEP_1)
	v_fmac_f32_e32 v38, v46, v38
	v_mul_f32_e32 v46, v47, v38
	s_delay_alu instid0(VALU_DEP_1) | instskip(NEXT) | instid1(VALU_DEP_1)
	v_fma_f32 v51, -v35, v46, v47
	v_fmac_f32_e32 v46, v51, v38
	s_delay_alu instid0(VALU_DEP_1) | instskip(NEXT) | instid1(VALU_DEP_1)
	v_fma_f32 v35, -v35, v46, v47
	v_div_fmas_f32 v35, v35, v38, v46
	s_delay_alu instid0(VALU_DEP_1) | instskip(NEXT) | instid1(VALU_DEP_1)
	v_div_fixup_f32 v35, v35, v41, -v40
	v_fma_f32 v38, v35, v35, 1.0
	s_delay_alu instid0(VALU_DEP_1) | instskip(SKIP_1) | instid1(VALU_DEP_2)
	v_mul_f32_e32 v46, 0x4f800000, v38
	v_cmp_gt_f32_e32 vcc_lo, 0xf800000, v38
	v_cndmask_b32_e32 v38, v38, v46, vcc_lo
	s_delay_alu instid0(VALU_DEP_1) | instskip(SKIP_1) | instid1(TRANS32_DEP_1)
	v_sqrt_f32_e32 v46, v38
	v_nop
	v_dual_add_nc_u32 v47, -1, v46 :: v_dual_add_nc_u32 v51, 1, v46
	s_delay_alu instid0(VALU_DEP_1) | instskip(NEXT) | instid1(VALU_DEP_2)
	v_fma_f32 v52, -v47, v46, v38
	v_fma_f32 v53, -v51, v46, v38
	s_delay_alu instid0(VALU_DEP_2) | instskip(NEXT) | instid1(VALU_DEP_1)
	v_cmp_ge_f32_e64 s3, 0, v52
	v_cndmask_b32_e64 v46, v46, v47, s3
	s_delay_alu instid0(VALU_DEP_3) | instskip(NEXT) | instid1(VALU_DEP_1)
	v_cmp_lt_f32_e64 s3, 0, v53
	v_cndmask_b32_e64 v46, v46, v51, s3
	s_delay_alu instid0(VALU_DEP_1) | instskip(NEXT) | instid1(VALU_DEP_1)
	v_mul_f32_e32 v47, 0x37800000, v46
	v_cndmask_b32_e32 v46, v46, v47, vcc_lo
	v_cmp_class_f32_e64 vcc_lo, v38, 0x260
	s_delay_alu instid0(VALU_DEP_2) | instskip(NEXT) | instid1(VALU_DEP_1)
	v_cndmask_b32_e32 v38, v46, v38, vcc_lo
	v_div_scale_f32 v46, null, v38, v38, 1.0
	s_delay_alu instid0(VALU_DEP_1) | instskip(SKIP_1) | instid1(TRANS32_DEP_1)
	v_rcp_f32_e32 v47, v46
	v_nop
	v_fma_f32 v51, -v46, v47, 1.0
	s_delay_alu instid0(VALU_DEP_1) | instskip(SKIP_1) | instid1(VALU_DEP_1)
	v_fmac_f32_e32 v47, v51, v47
	v_div_scale_f32 v51, vcc_lo, 1.0, v38, 1.0
	v_mul_f32_e32 v52, v51, v47
	s_delay_alu instid0(VALU_DEP_1) | instskip(NEXT) | instid1(VALU_DEP_1)
	v_fma_f32 v53, -v46, v52, v51
	v_fmac_f32_e32 v52, v53, v47
	s_delay_alu instid0(VALU_DEP_1) | instskip(NEXT) | instid1(VALU_DEP_1)
	v_fma_f32 v46, -v46, v52, v51
	v_div_fmas_f32 v46, v46, v47, v52
	s_delay_alu instid0(VALU_DEP_1) | instskip(NEXT) | instid1(VALU_DEP_1)
	v_div_fixup_f32 v47, v46, v38, 1.0
	v_mul_f32_e32 v46, v35, v47
.LBB58_183:                             ;   in Loop: Header=BB58_179 Depth=3
	s_and_not1_saveexec_b32 s83, s83
	s_cbranch_execz .LBB58_185
; %bb.184:                              ;   in Loop: Header=BB58_179 Depth=3
	v_div_scale_f32 v35, null, v40, v40, -v41
	v_div_scale_f32 v47, vcc_lo, -v41, v40, -v41
	s_delay_alu instid0(VALU_DEP_2) | instskip(SKIP_1) | instid1(TRANS32_DEP_1)
	v_rcp_f32_e32 v38, v35
	v_nop
	v_fma_f32 v46, -v35, v38, 1.0
	s_delay_alu instid0(VALU_DEP_1) | instskip(NEXT) | instid1(VALU_DEP_1)
	v_fmac_f32_e32 v38, v46, v38
	v_mul_f32_e32 v46, v47, v38
	s_delay_alu instid0(VALU_DEP_1) | instskip(NEXT) | instid1(VALU_DEP_1)
	v_fma_f32 v51, -v35, v46, v47
	v_fmac_f32_e32 v46, v51, v38
	s_delay_alu instid0(VALU_DEP_1) | instskip(NEXT) | instid1(VALU_DEP_1)
	v_fma_f32 v35, -v35, v46, v47
	v_div_fmas_f32 v35, v35, v38, v46
	s_delay_alu instid0(VALU_DEP_1) | instskip(NEXT) | instid1(VALU_DEP_1)
	v_div_fixup_f32 v35, v35, v40, -v41
	v_fma_f32 v38, v35, v35, 1.0
	s_delay_alu instid0(VALU_DEP_1) | instskip(SKIP_1) | instid1(VALU_DEP_2)
	v_mul_f32_e32 v46, 0x4f800000, v38
	v_cmp_gt_f32_e32 vcc_lo, 0xf800000, v38
	v_cndmask_b32_e32 v38, v38, v46, vcc_lo
	s_delay_alu instid0(VALU_DEP_1) | instskip(SKIP_1) | instid1(TRANS32_DEP_1)
	v_sqrt_f32_e32 v46, v38
	v_nop
	v_dual_add_nc_u32 v47, -1, v46 :: v_dual_add_nc_u32 v51, 1, v46
	s_delay_alu instid0(VALU_DEP_1) | instskip(NEXT) | instid1(VALU_DEP_2)
	v_fma_f32 v52, -v47, v46, v38
	v_fma_f32 v53, -v51, v46, v38
	s_delay_alu instid0(VALU_DEP_2) | instskip(NEXT) | instid1(VALU_DEP_1)
	v_cmp_ge_f32_e64 s3, 0, v52
	v_cndmask_b32_e64 v46, v46, v47, s3
	s_delay_alu instid0(VALU_DEP_3) | instskip(NEXT) | instid1(VALU_DEP_1)
	v_cmp_lt_f32_e64 s3, 0, v53
	v_cndmask_b32_e64 v46, v46, v51, s3
	s_delay_alu instid0(VALU_DEP_1) | instskip(NEXT) | instid1(VALU_DEP_1)
	v_mul_f32_e32 v47, 0x37800000, v46
	v_cndmask_b32_e32 v46, v46, v47, vcc_lo
	v_cmp_class_f32_e64 vcc_lo, v38, 0x260
	s_delay_alu instid0(VALU_DEP_2) | instskip(NEXT) | instid1(VALU_DEP_1)
	v_cndmask_b32_e32 v38, v46, v38, vcc_lo
	v_div_scale_f32 v46, null, v38, v38, 1.0
	s_delay_alu instid0(VALU_DEP_1) | instskip(SKIP_1) | instid1(TRANS32_DEP_1)
	v_rcp_f32_e32 v47, v46
	v_nop
	v_fma_f32 v51, -v46, v47, 1.0
	s_delay_alu instid0(VALU_DEP_1) | instskip(SKIP_1) | instid1(VALU_DEP_1)
	v_fmac_f32_e32 v47, v51, v47
	v_div_scale_f32 v51, vcc_lo, 1.0, v38, 1.0
	v_mul_f32_e32 v52, v51, v47
	s_delay_alu instid0(VALU_DEP_1) | instskip(NEXT) | instid1(VALU_DEP_1)
	v_fma_f32 v53, -v46, v52, v51
	v_fmac_f32_e32 v52, v53, v47
	s_delay_alu instid0(VALU_DEP_1) | instskip(NEXT) | instid1(VALU_DEP_1)
	v_fma_f32 v46, -v46, v52, v51
	v_div_fmas_f32 v46, v46, v47, v52
	s_delay_alu instid0(VALU_DEP_1) | instskip(NEXT) | instid1(VALU_DEP_1)
	v_div_fixup_f32 v46, v46, v38, 1.0
	v_mul_f32_e32 v47, v35, v46
.LBB58_185:                             ;   in Loop: Header=BB58_179 Depth=3
	s_or_b32 exec_lo, exec_lo, s83
	s_delay_alu instid0(VALU_DEP_1) | instskip(NEXT) | instid1(VALU_DEP_1)
	v_pk_mul_f32 v[40:41], v[40:41], v[46:47]
	v_sub_f32_e32 v35, v41, v40
.LBB58_186:                             ;   in Loop: Header=BB58_179 Depth=3
	s_and_not1_saveexec_b32 s3, s82
; %bb.187:                              ;   in Loop: Header=BB58_179 Depth=3
	v_dual_mov_b32 v46, 1.0 :: v_dual_mov_b32 v47, 0
; %bb.188:                              ;   in Loop: Header=BB58_179 Depth=3
	s_or_b32 exec_lo, exec_lo, s3
	s_delay_alu instid0(VALU_DEP_2)
	v_mov_b32_e32 v41, v35
.LBB58_189:                             ;   in Loop: Header=BB58_179 Depth=3
	s_or_b32 exec_lo, exec_lo, s81
	s_cmp_eq_u32 s80, 0
	s_cbranch_scc1 .LBB58_178
; %bb.190:                              ;   in Loop: Header=BB58_179 Depth=3
	global_store_b32 v[44:45], v41, off offset:4
	s_branch .LBB58_178
.LBB58_191:                             ;   in Loop: Header=BB58_153 Depth=2
	ds_store_2addr_b32 v48, v34, v30 offset0:1 offset1:4
	s_cbranch_execz .LBB58_164
	s_branch .LBB58_165
.LBB58_192:                             ;   in Loop: Header=BB58_153 Depth=2
	s_or_b32 exec_lo, exec_lo, s79
	ds_store_b32 v48, v6 offset:8
.LBB58_193:                             ;   in Loop: Header=BB58_153 Depth=2
	s_or_b32 exec_lo, exec_lo, s78
	global_load_b32 v38, v[32:33], off
.LBB58_194:                             ;   in Loop: Header=BB58_153 Depth=2
	s_wait_xcnt 0x0
	s_or_b32 exec_lo, exec_lo, s35
	s_wait_loadcnt 0x0
	v_sub_f32_e32 v6, v38, v6
                                        ; implicit-def: $vgpr30
                                        ; implicit-def: $vgpr38
	global_store_b32 v[32:33], v6, off
	global_store_b32 v[36:37], v41, off
                                        ; implicit-def: $vgpr36_vgpr37
                                        ; implicit-def: $vgpr32_vgpr33
.LBB58_195:                             ;   in Loop: Header=BB58_153 Depth=2
	s_wait_xcnt 0x0
	s_and_not1_saveexec_b32 s35, s4
	s_cbranch_execz .LBB58_228
; %bb.196:                              ;   in Loop: Header=BB58_153 Depth=2
	v_lshl_add_u64 v[34:35], v[36:37], 2, s[40:41]
	s_mov_b32 s4, exec_lo
                                        ; implicit-def: $vgpr6
	global_load_b32 v41, v[34:35], off
	global_load_b32 v39, v[32:33], off offset:4
	s_wait_loadcnt 0x0
	v_dual_add_f32 v31, v41, v41 :: v_dual_sub_f32 v40, v38, v39
	s_delay_alu instid0(VALU_DEP_1) | instskip(SKIP_1) | instid1(VALU_DEP_2)
	v_and_b32_e32 v42, 0x7fffffff, v31
	s_wait_xcnt 0x0
	v_cmpx_ngt_f32_e64 |v40|, |v31|
	s_xor_b32 s4, exec_lo, s4
	s_cbranch_execz .LBB58_202
; %bb.197:                              ;   in Loop: Header=BB58_153 Depth=2
	v_cmp_nlt_f32_e64 s3, |v40|, |v31|
                                        ; implicit-def: $vgpr6
	s_and_saveexec_b32 s70, s3
	s_delay_alu instid0(SALU_CYCLE_1)
	s_xor_b32 s3, exec_lo, s70
	s_cbranch_execz .LBB58_199
; %bb.198:                              ;   in Loop: Header=BB58_153 Depth=2
	v_cvt_f64_f32_e32 v[42:43], v42
	s_delay_alu instid0(VALU_DEP_1) | instskip(NEXT) | instid1(VALU_DEP_1)
	v_mul_f64_e32 v[42:43], 0x3ff6a09e667f3bcd, v[42:43]
	v_cvt_f32_f64_e32 v6, v[42:43]
                                        ; implicit-def: $vgpr42
.LBB58_199:                             ;   in Loop: Header=BB58_153 Depth=2
	s_and_not1_saveexec_b32 s70, s3
	s_cbranch_execz .LBB58_201
; %bb.200:                              ;   in Loop: Header=BB58_153 Depth=2
	v_and_b32_e32 v6, 0x7fffffff, v40
	s_delay_alu instid0(VALU_DEP_1) | instskip(SKIP_1) | instid1(VALU_DEP_2)
	v_div_scale_f32 v43, null, v42, v42, v6
	v_div_scale_f32 v6, vcc_lo, v6, v42, v6
	v_rcp_f32_e32 v44, v43
	v_nop
	s_delay_alu instid0(TRANS32_DEP_1) | instskip(NEXT) | instid1(VALU_DEP_1)
	v_fma_f32 v45, -v43, v44, 1.0
	v_fmac_f32_e32 v44, v45, v44
	s_delay_alu instid0(VALU_DEP_1) | instskip(NEXT) | instid1(VALU_DEP_1)
	v_mul_f32_e32 v42, v6, v44
	v_fma_f32 v45, -v43, v42, v6
	s_delay_alu instid0(VALU_DEP_1) | instskip(NEXT) | instid1(VALU_DEP_1)
	v_fmac_f32_e32 v42, v45, v44
	v_fma_f32 v6, -v43, v42, v6
	s_delay_alu instid0(VALU_DEP_1) | instskip(NEXT) | instid1(VALU_DEP_1)
	v_div_fmas_f32 v6, v6, v44, v42
	v_div_fixup_f32 v6, v6, |v31|, |v40|
	s_delay_alu instid0(VALU_DEP_1) | instskip(NEXT) | instid1(VALU_DEP_1)
	v_fma_f32 v6, v6, v6, 1.0
	v_mul_f32_e32 v42, 0x4f800000, v6
	v_cmp_gt_f32_e32 vcc_lo, 0xf800000, v6
	s_delay_alu instid0(VALU_DEP_2) | instskip(NEXT) | instid1(VALU_DEP_1)
	v_cndmask_b32_e32 v6, v6, v42, vcc_lo
	v_sqrt_f32_e32 v42, v6
	v_nop
	s_delay_alu instid0(TRANS32_DEP_1) | instskip(NEXT) | instid1(VALU_DEP_1)
	v_dual_add_nc_u32 v43, -1, v42 :: v_dual_add_nc_u32 v44, 1, v42
	v_dual_fma_f32 v45, -v43, v42, v6 :: v_dual_fma_f32 v46, -v44, v42, v6
	s_delay_alu instid0(VALU_DEP_1) | instskip(NEXT) | instid1(VALU_DEP_1)
	v_cmp_ge_f32_e64 s3, 0, v45
	v_cndmask_b32_e64 v42, v42, v43, s3
	s_delay_alu instid0(VALU_DEP_3) | instskip(NEXT) | instid1(VALU_DEP_1)
	v_cmp_lt_f32_e64 s3, 0, v46
	v_cndmask_b32_e64 v42, v42, v44, s3
	s_delay_alu instid0(VALU_DEP_1) | instskip(NEXT) | instid1(VALU_DEP_1)
	v_mul_f32_e32 v43, 0x37800000, v42
	v_cndmask_b32_e32 v42, v42, v43, vcc_lo
	v_cmp_class_f32_e64 vcc_lo, v6, 0x260
	s_delay_alu instid0(VALU_DEP_2) | instskip(NEXT) | instid1(VALU_DEP_1)
	v_cndmask_b32_e32 v6, v42, v6, vcc_lo
	v_mul_f32_e64 v6, |v31|, v6
.LBB58_201:                             ;   in Loop: Header=BB58_153 Depth=2
	s_or_b32 exec_lo, exec_lo, s70
                                        ; implicit-def: $vgpr42
.LBB58_202:                             ;   in Loop: Header=BB58_153 Depth=2
	s_and_not1_saveexec_b32 s4, s4
	s_cbranch_execz .LBB58_204
; %bb.203:                              ;   in Loop: Header=BB58_153 Depth=2
	v_and_b32_e32 v6, 0x7fffffff, v40
	s_delay_alu instid0(VALU_DEP_1) | instskip(SKIP_1) | instid1(VALU_DEP_2)
	v_div_scale_f32 v43, null, v6, v6, v42
	v_div_scale_f32 v6, vcc_lo, v42, v6, v42
	v_rcp_f32_e32 v44, v43
	v_nop
	s_delay_alu instid0(TRANS32_DEP_1) | instskip(NEXT) | instid1(VALU_DEP_1)
	v_fma_f32 v45, -v43, v44, 1.0
	v_fmac_f32_e32 v44, v45, v44
	s_delay_alu instid0(VALU_DEP_1) | instskip(NEXT) | instid1(VALU_DEP_1)
	v_mul_f32_e32 v42, v6, v44
	v_fma_f32 v45, -v43, v42, v6
	s_delay_alu instid0(VALU_DEP_1) | instskip(NEXT) | instid1(VALU_DEP_1)
	v_fmac_f32_e32 v42, v45, v44
	v_fma_f32 v6, -v43, v42, v6
	s_delay_alu instid0(VALU_DEP_1) | instskip(NEXT) | instid1(VALU_DEP_1)
	v_div_fmas_f32 v6, v6, v44, v42
	v_div_fixup_f32 v6, v6, |v40|, |v31|
	s_delay_alu instid0(VALU_DEP_1) | instskip(NEXT) | instid1(VALU_DEP_1)
	v_fma_f32 v6, v6, v6, 1.0
	v_mul_f32_e32 v42, 0x4f800000, v6
	v_cmp_gt_f32_e32 vcc_lo, 0xf800000, v6
	s_delay_alu instid0(VALU_DEP_2) | instskip(NEXT) | instid1(VALU_DEP_1)
	v_cndmask_b32_e32 v6, v6, v42, vcc_lo
	v_sqrt_f32_e32 v42, v6
	v_nop
	s_delay_alu instid0(TRANS32_DEP_1) | instskip(NEXT) | instid1(VALU_DEP_1)
	v_dual_add_nc_u32 v43, -1, v42 :: v_dual_add_nc_u32 v44, 1, v42
	v_dual_fma_f32 v45, -v43, v42, v6 :: v_dual_fma_f32 v46, -v44, v42, v6
	s_delay_alu instid0(VALU_DEP_1) | instskip(NEXT) | instid1(VALU_DEP_1)
	v_cmp_ge_f32_e64 s3, 0, v45
	v_cndmask_b32_e64 v42, v42, v43, s3
	s_delay_alu instid0(VALU_DEP_3) | instskip(NEXT) | instid1(VALU_DEP_1)
	v_cmp_lt_f32_e64 s3, 0, v46
	v_cndmask_b32_e64 v42, v42, v44, s3
	s_delay_alu instid0(VALU_DEP_1) | instskip(NEXT) | instid1(VALU_DEP_1)
	v_mul_f32_e32 v43, 0x37800000, v42
	v_cndmask_b32_e32 v42, v42, v43, vcc_lo
	v_cmp_class_f32_e64 vcc_lo, v6, 0x260
	s_delay_alu instid0(VALU_DEP_2) | instskip(NEXT) | instid1(VALU_DEP_1)
	v_cndmask_b32_e32 v6, v42, v6, vcc_lo
	v_mul_f32_e64 v6, |v40|, v6
.LBB58_204:                             ;   in Loop: Header=BB58_153 Depth=2
	s_or_b32 exec_lo, exec_lo, s4
	v_cmp_gt_f32_e64 vcc_lo, |v38|, |v39|
	v_add_f32_e32 v44, v38, v39
	s_mov_b32 s3, exec_lo
	v_dual_cndmask_b32 v43, v38, v39, vcc_lo :: v_dual_cndmask_b32 v45, v39, v38, vcc_lo
                                        ; implicit-def: $vgpr38_vgpr39
	s_delay_alu instid0(VALU_DEP_2)
	v_cmpx_ngt_f32_e32 0, v44
	s_xor_b32 s3, exec_lo, s3
	s_cbranch_execz .LBB58_210
; %bb.205:                              ;   in Loop: Header=BB58_153 Depth=2
	s_mov_b32 s4, exec_lo
                                        ; implicit-def: $vgpr38_vgpr39
	v_cmpx_nlt_f32_e32 0, v44
	s_xor_b32 s4, exec_lo, s4
; %bb.206:                              ;   in Loop: Header=BB58_153 Depth=2
	v_pk_mul_f32 v[38:39], v[6:7], v[4:5] op_sel_hi:[0,1]
                                        ; implicit-def: $vgpr44
                                        ; implicit-def: $vgpr45
                                        ; implicit-def: $vgpr43
                                        ; implicit-def: $vgpr41
; %bb.207:                              ;   in Loop: Header=BB58_153 Depth=2
	s_and_not1_saveexec_b32 s4, s4
	s_cbranch_execz .LBB58_209
; %bb.208:                              ;   in Loop: Header=BB58_153 Depth=2
	v_add_f32_e32 v38, v44, v6
	v_cvt_f64_f32_e32 v[44:45], v45
	v_cvt_f64_f32_e32 v[42:43], v43
	s_delay_alu instid0(VALU_DEP_3) | instskip(NEXT) | instid1(VALU_DEP_1)
	v_mul_f32_e32 v38, 0.5, v38
	v_cvt_f64_f32_e32 v[46:47], v38
	s_delay_alu instid0(VALU_DEP_1) | instskip(NEXT) | instid1(VALU_DEP_1)
	v_div_scale_f64 v[52:53], null, v[46:47], v[46:47], v[44:45]
	v_rcp_f64_e32 v[54:55], v[52:53]
	v_nop
	s_delay_alu instid0(TRANS32_DEP_1) | instskip(NEXT) | instid1(VALU_DEP_1)
	v_fma_f64 v[56:57], -v[52:53], v[54:55], 1.0
	v_fmac_f64_e32 v[54:55], v[54:55], v[56:57]
	s_delay_alu instid0(VALU_DEP_1) | instskip(NEXT) | instid1(VALU_DEP_1)
	v_fma_f64 v[56:57], -v[52:53], v[54:55], 1.0
	v_fmac_f64_e32 v[54:55], v[54:55], v[56:57]
	v_div_scale_f64 v[56:57], vcc_lo, v[44:45], v[46:47], v[44:45]
	s_delay_alu instid0(VALU_DEP_1) | instskip(NEXT) | instid1(VALU_DEP_1)
	v_mul_f64_e32 v[58:59], v[56:57], v[54:55]
	v_fma_f64 v[52:53], -v[52:53], v[58:59], v[56:57]
	s_delay_alu instid0(VALU_DEP_1) | instskip(NEXT) | instid1(VALU_DEP_1)
	v_div_fmas_f64 v[52:53], v[52:53], v[54:55], v[58:59]
	v_div_fixup_f64 v[44:45], v[52:53], v[46:47], v[44:45]
	v_cvt_f64_f32_e32 v[52:53], v41
	s_delay_alu instid0(VALU_DEP_1) | instskip(NEXT) | instid1(VALU_DEP_1)
	v_div_scale_f64 v[54:55], null, v[46:47], v[46:47], v[52:53]
	v_rcp_f64_e32 v[56:57], v[54:55]
	v_nop
	s_delay_alu instid0(TRANS32_DEP_1) | instskip(NEXT) | instid1(VALU_DEP_1)
	v_fma_f64 v[58:59], -v[54:55], v[56:57], 1.0
	v_fmac_f64_e32 v[56:57], v[56:57], v[58:59]
	s_delay_alu instid0(VALU_DEP_1) | instskip(NEXT) | instid1(VALU_DEP_1)
	v_fma_f64 v[58:59], -v[54:55], v[56:57], 1.0
	v_fmac_f64_e32 v[56:57], v[56:57], v[58:59]
	v_div_scale_f64 v[58:59], vcc_lo, v[52:53], v[46:47], v[52:53]
	s_delay_alu instid0(VALU_DEP_1) | instskip(NEXT) | instid1(VALU_DEP_1)
	v_mul_f64_e32 v[60:61], v[58:59], v[56:57]
	v_fma_f64 v[54:55], -v[54:55], v[60:61], v[58:59]
	s_delay_alu instid0(VALU_DEP_1) | instskip(NEXT) | instid1(VALU_DEP_1)
	v_div_fmas_f64 v[54:55], v[54:55], v[56:57], v[60:61]
	v_div_fixup_f64 v[46:47], v[54:55], v[46:47], v[52:53]
	s_delay_alu instid0(VALU_DEP_1) | instskip(NEXT) | instid1(VALU_DEP_1)
	v_mul_f64_e32 v[46:47], v[46:47], v[52:53]
	v_fma_f64 v[42:43], v[44:45], v[42:43], -v[46:47]
	s_delay_alu instid0(VALU_DEP_1)
	v_cvt_f32_f64_e32 v39, v[42:43]
.LBB58_209:                             ;   in Loop: Header=BB58_153 Depth=2
	s_or_b32 exec_lo, exec_lo, s4
                                        ; implicit-def: $vgpr44
                                        ; implicit-def: $vgpr45
                                        ; implicit-def: $vgpr43
                                        ; implicit-def: $vgpr41
.LBB58_210:                             ;   in Loop: Header=BB58_153 Depth=2
	s_or_saveexec_b32 s3, s3
	v_mov_b32_e32 v42, 1
	s_xor_b32 exec_lo, exec_lo, s3
	s_cbranch_execz .LBB58_212
; %bb.211:                              ;   in Loop: Header=BB58_153 Depth=2
	v_sub_f32_e32 v38, v44, v6
	v_cvt_f64_f32_e32 v[44:45], v45
	v_cvt_f64_f32_e32 v[42:43], v43
	s_delay_alu instid0(VALU_DEP_3) | instskip(NEXT) | instid1(VALU_DEP_1)
	v_mul_f32_e32 v38, 0.5, v38
	v_cvt_f64_f32_e32 v[46:47], v38
	s_delay_alu instid0(VALU_DEP_1) | instskip(NEXT) | instid1(VALU_DEP_1)
	v_div_scale_f64 v[52:53], null, v[46:47], v[46:47], v[44:45]
	v_rcp_f64_e32 v[54:55], v[52:53]
	v_nop
	s_delay_alu instid0(TRANS32_DEP_1) | instskip(NEXT) | instid1(VALU_DEP_1)
	v_fma_f64 v[56:57], -v[52:53], v[54:55], 1.0
	v_fmac_f64_e32 v[54:55], v[54:55], v[56:57]
	s_delay_alu instid0(VALU_DEP_1) | instskip(NEXT) | instid1(VALU_DEP_1)
	v_fma_f64 v[56:57], -v[52:53], v[54:55], 1.0
	v_fmac_f64_e32 v[54:55], v[54:55], v[56:57]
	v_div_scale_f64 v[56:57], vcc_lo, v[44:45], v[46:47], v[44:45]
	s_delay_alu instid0(VALU_DEP_1) | instskip(NEXT) | instid1(VALU_DEP_1)
	v_mul_f64_e32 v[58:59], v[56:57], v[54:55]
	v_fma_f64 v[52:53], -v[52:53], v[58:59], v[56:57]
	s_delay_alu instid0(VALU_DEP_1) | instskip(NEXT) | instid1(VALU_DEP_1)
	v_div_fmas_f64 v[52:53], v[52:53], v[54:55], v[58:59]
	v_div_fixup_f64 v[44:45], v[52:53], v[46:47], v[44:45]
	v_cvt_f64_f32_e32 v[52:53], v41
	s_delay_alu instid0(VALU_DEP_1) | instskip(NEXT) | instid1(VALU_DEP_1)
	v_div_scale_f64 v[54:55], null, v[46:47], v[46:47], v[52:53]
	v_rcp_f64_e32 v[56:57], v[54:55]
	v_nop
	s_delay_alu instid0(TRANS32_DEP_1) | instskip(NEXT) | instid1(VALU_DEP_1)
	v_fma_f64 v[58:59], -v[54:55], v[56:57], 1.0
	v_fmac_f64_e32 v[56:57], v[56:57], v[58:59]
	s_delay_alu instid0(VALU_DEP_1) | instskip(NEXT) | instid1(VALU_DEP_1)
	v_fma_f64 v[58:59], -v[54:55], v[56:57], 1.0
	v_fmac_f64_e32 v[56:57], v[56:57], v[58:59]
	v_div_scale_f64 v[58:59], vcc_lo, v[52:53], v[46:47], v[52:53]
	s_delay_alu instid0(VALU_DEP_1) | instskip(NEXT) | instid1(VALU_DEP_1)
	v_mul_f64_e32 v[60:61], v[58:59], v[56:57]
	v_fma_f64 v[54:55], -v[54:55], v[60:61], v[58:59]
	s_delay_alu instid0(VALU_DEP_1) | instskip(NEXT) | instid1(VALU_DEP_1)
	v_div_fmas_f64 v[54:55], v[54:55], v[56:57], v[60:61]
	v_div_fixup_f64 v[46:47], v[54:55], v[46:47], v[52:53]
	s_delay_alu instid0(VALU_DEP_1) | instskip(NEXT) | instid1(VALU_DEP_1)
	v_mul_f64_e32 v[46:47], v[46:47], v[52:53]
	v_fma_f64 v[42:43], v[44:45], v[42:43], -v[46:47]
	s_delay_alu instid0(VALU_DEP_1)
	v_cvt_f32_f64_e32 v39, v[42:43]
	v_mov_b32_e32 v42, -1
.LBB58_212:                             ;   in Loop: Header=BB58_153 Depth=2
	s_or_b32 exec_lo, exec_lo, s3
	v_cmp_nle_f32_e64 s3, 0, v40
	s_mov_b32 s70, exec_lo
                                        ; implicit-def: $vgpr41
	v_cndmask_b32_e64 v6, v6, -v6, s3
	s_delay_alu instid0(VALU_DEP_1) | instskip(NEXT) | instid1(VALU_DEP_1)
	v_add_f32_e32 v6, v40, v6
                                        ; implicit-def: $vgpr40
	v_cmpx_ngt_f32_e64 |v6|, |v31|
	s_xor_b32 s70, exec_lo, s70
	s_cbranch_execz .LBB58_216
; %bb.213:                              ;   in Loop: Header=BB58_153 Depth=2
	v_dual_mov_b32 v40, 0 :: v_dual_mov_b32 v41, 1.0
	s_mov_b32 s71, exec_lo
	v_cmpx_neq_f32_e32 0, v31
	s_cbranch_execz .LBB58_215
; %bb.214:                              ;   in Loop: Header=BB58_153 Depth=2
	v_div_scale_f32 v40, null, v31, v31, -v6
	v_div_scale_f32 v44, vcc_lo, -v6, v31, -v6
	s_delay_alu instid0(VALU_DEP_2) | instskip(SKIP_1) | instid1(TRANS32_DEP_1)
	v_rcp_f32_e32 v41, v40
	v_nop
	v_fma_f32 v43, -v40, v41, 1.0
	s_delay_alu instid0(VALU_DEP_1) | instskip(NEXT) | instid1(VALU_DEP_1)
	v_fmac_f32_e32 v41, v43, v41
	v_mul_f32_e32 v43, v44, v41
	s_delay_alu instid0(VALU_DEP_1) | instskip(NEXT) | instid1(VALU_DEP_1)
	v_fma_f32 v45, -v40, v43, v44
	v_fmac_f32_e32 v43, v45, v41
	s_delay_alu instid0(VALU_DEP_1) | instskip(NEXT) | instid1(VALU_DEP_1)
	v_fma_f32 v40, -v40, v43, v44
	v_div_fmas_f32 v40, v40, v41, v43
	s_delay_alu instid0(VALU_DEP_1) | instskip(NEXT) | instid1(VALU_DEP_1)
	v_div_fixup_f32 v6, v40, v31, -v6
	v_fma_f32 v31, v6, v6, 1.0
	s_delay_alu instid0(VALU_DEP_1) | instskip(SKIP_1) | instid1(VALU_DEP_2)
	v_mul_f32_e32 v40, 0x4f800000, v31
	v_cmp_gt_f32_e32 vcc_lo, 0xf800000, v31
	v_cndmask_b32_e32 v31, v31, v40, vcc_lo
	s_delay_alu instid0(VALU_DEP_1) | instskip(SKIP_1) | instid1(TRANS32_DEP_1)
	v_sqrt_f32_e32 v40, v31
	v_nop
	v_dual_add_nc_u32 v41, -1, v40 :: v_dual_add_nc_u32 v43, 1, v40
	s_delay_alu instid0(VALU_DEP_1) | instskip(NEXT) | instid1(VALU_DEP_1)
	v_dual_fma_f32 v44, -v41, v40, v31 :: v_dual_fma_f32 v45, -v43, v40, v31
	v_cmp_ge_f32_e64 s4, 0, v44
	s_delay_alu instid0(VALU_DEP_1) | instskip(NEXT) | instid1(VALU_DEP_3)
	v_cndmask_b32_e64 v40, v40, v41, s4
	v_cmp_lt_f32_e64 s4, 0, v45
	s_delay_alu instid0(VALU_DEP_1) | instskip(NEXT) | instid1(VALU_DEP_1)
	v_cndmask_b32_e64 v40, v40, v43, s4
	v_mul_f32_e32 v41, 0x37800000, v40
	s_delay_alu instid0(VALU_DEP_1) | instskip(SKIP_1) | instid1(VALU_DEP_2)
	v_cndmask_b32_e32 v40, v40, v41, vcc_lo
	v_cmp_class_f32_e64 vcc_lo, v31, 0x260
	v_cndmask_b32_e32 v31, v40, v31, vcc_lo
	s_delay_alu instid0(VALU_DEP_1) | instskip(NEXT) | instid1(VALU_DEP_1)
	v_div_scale_f32 v40, null, v31, v31, 1.0
	v_rcp_f32_e32 v41, v40
	v_nop
	s_delay_alu instid0(TRANS32_DEP_1) | instskip(NEXT) | instid1(VALU_DEP_1)
	v_fma_f32 v43, -v40, v41, 1.0
	v_fmac_f32_e32 v41, v43, v41
	v_div_scale_f32 v43, vcc_lo, 1.0, v31, 1.0
	s_delay_alu instid0(VALU_DEP_1) | instskip(NEXT) | instid1(VALU_DEP_1)
	v_mul_f32_e32 v44, v43, v41
	v_fma_f32 v45, -v40, v44, v43
	s_delay_alu instid0(VALU_DEP_1) | instskip(NEXT) | instid1(VALU_DEP_1)
	v_fmac_f32_e32 v44, v45, v41
	v_fma_f32 v40, -v40, v44, v43
	s_delay_alu instid0(VALU_DEP_1) | instskip(NEXT) | instid1(VALU_DEP_1)
	v_div_fmas_f32 v40, v40, v41, v44
	v_div_fixup_f32 v41, v40, v31, 1.0
	s_delay_alu instid0(VALU_DEP_1)
	v_mul_f32_e32 v40, v6, v41
.LBB58_215:                             ;   in Loop: Header=BB58_153 Depth=2
	s_or_b32 exec_lo, exec_lo, s71
                                        ; implicit-def: $vgpr6
                                        ; implicit-def: $vgpr31
.LBB58_216:                             ;   in Loop: Header=BB58_153 Depth=2
	s_and_not1_saveexec_b32 s70, s70
	s_cbranch_execz .LBB58_218
; %bb.217:                              ;   in Loop: Header=BB58_153 Depth=2
	v_div_scale_f32 v40, null, v6, v6, -v31
	v_div_scale_f32 v44, vcc_lo, -v31, v6, -v31
	s_delay_alu instid0(VALU_DEP_2) | instskip(SKIP_1) | instid1(TRANS32_DEP_1)
	v_rcp_f32_e32 v41, v40
	v_nop
	v_fma_f32 v43, -v40, v41, 1.0
	s_delay_alu instid0(VALU_DEP_1) | instskip(NEXT) | instid1(VALU_DEP_1)
	v_fmac_f32_e32 v41, v43, v41
	v_mul_f32_e32 v43, v44, v41
	s_delay_alu instid0(VALU_DEP_1) | instskip(NEXT) | instid1(VALU_DEP_1)
	v_fma_f32 v45, -v40, v43, v44
	v_fmac_f32_e32 v43, v45, v41
	s_delay_alu instid0(VALU_DEP_1) | instskip(NEXT) | instid1(VALU_DEP_1)
	v_fma_f32 v40, -v40, v43, v44
	v_div_fmas_f32 v40, v40, v41, v43
	s_delay_alu instid0(VALU_DEP_1) | instskip(NEXT) | instid1(VALU_DEP_1)
	v_div_fixup_f32 v6, v40, v6, -v31
	v_fma_f32 v31, v6, v6, 1.0
	s_delay_alu instid0(VALU_DEP_1) | instskip(SKIP_1) | instid1(VALU_DEP_2)
	v_mul_f32_e32 v40, 0x4f800000, v31
	v_cmp_gt_f32_e32 vcc_lo, 0xf800000, v31
	v_cndmask_b32_e32 v31, v31, v40, vcc_lo
	s_delay_alu instid0(VALU_DEP_1) | instskip(SKIP_1) | instid1(TRANS32_DEP_1)
	v_sqrt_f32_e32 v40, v31
	v_nop
	v_dual_add_nc_u32 v41, -1, v40 :: v_dual_add_nc_u32 v43, 1, v40
	s_delay_alu instid0(VALU_DEP_1) | instskip(NEXT) | instid1(VALU_DEP_1)
	v_dual_fma_f32 v44, -v41, v40, v31 :: v_dual_fma_f32 v45, -v43, v40, v31
	v_cmp_ge_f32_e64 s4, 0, v44
	s_delay_alu instid0(VALU_DEP_1) | instskip(NEXT) | instid1(VALU_DEP_3)
	v_cndmask_b32_e64 v40, v40, v41, s4
	v_cmp_lt_f32_e64 s4, 0, v45
	s_delay_alu instid0(VALU_DEP_1) | instskip(NEXT) | instid1(VALU_DEP_1)
	v_cndmask_b32_e64 v40, v40, v43, s4
	v_mul_f32_e32 v41, 0x37800000, v40
	s_delay_alu instid0(VALU_DEP_1) | instskip(SKIP_1) | instid1(VALU_DEP_2)
	v_cndmask_b32_e32 v40, v40, v41, vcc_lo
	v_cmp_class_f32_e64 vcc_lo, v31, 0x260
	v_cndmask_b32_e32 v31, v40, v31, vcc_lo
	s_delay_alu instid0(VALU_DEP_1) | instskip(NEXT) | instid1(VALU_DEP_1)
	v_div_scale_f32 v40, null, v31, v31, 1.0
	v_rcp_f32_e32 v41, v40
	v_nop
	s_delay_alu instid0(TRANS32_DEP_1) | instskip(NEXT) | instid1(VALU_DEP_1)
	v_fma_f32 v43, -v40, v41, 1.0
	v_fmac_f32_e32 v41, v43, v41
	v_div_scale_f32 v43, vcc_lo, 1.0, v31, 1.0
	s_delay_alu instid0(VALU_DEP_1) | instskip(NEXT) | instid1(VALU_DEP_1)
	v_mul_f32_e32 v44, v43, v41
	v_fma_f32 v45, -v40, v44, v43
	s_delay_alu instid0(VALU_DEP_1) | instskip(NEXT) | instid1(VALU_DEP_1)
	v_fmac_f32_e32 v44, v45, v41
	v_fma_f32 v40, -v40, v44, v43
	s_delay_alu instid0(VALU_DEP_1) | instskip(NEXT) | instid1(VALU_DEP_1)
	v_div_fmas_f32 v40, v40, v41, v44
	v_div_fixup_f32 v40, v40, v31, 1.0
	s_delay_alu instid0(VALU_DEP_1)
	v_mul_f32_e32 v41, v6, v40
.LBB58_218:                             ;   in Loop: Header=BB58_153 Depth=2
	s_or_b32 exec_lo, exec_lo, s70
	v_cndmask_b32_e64 v6, 1, -1, s3
	v_lshl_add_u64 v[36:37], v[36:37], 2, s[44:45]
	v_add_nc_u32_e32 v30, 2, v30
	s_delay_alu instid0(VALU_DEP_3) | instskip(SKIP_1) | instid1(VALU_DEP_4)
	v_cmp_eq_u32_e32 vcc_lo, v42, v6
	v_dual_cndmask_b32 v6, v40, v41, vcc_lo :: v_dual_cndmask_b32 v31, v41, -v40, vcc_lo
	v_lshl_add_u64 v[40:41], s[6:7], 2, v[36:37]
	s_clause 0x1
	global_store_b32 v[36:37], v31, off
	global_store_b32 v[40:41], v6, off offset:-4
	global_store_b64 v[32:33], v[38:39], off
	global_store_b32 v[34:35], v48, off
	ds_store_b32 v48, v30
	s_wait_xcnt 0x0
	s_or_b32 exec_lo, exec_lo, s35
                                        ; implicit-def: $vgpr6
.LBB58_219:                             ;   in Loop: Header=BB58_153 Depth=2
	s_and_not1_saveexec_b32 s3, s33
.LBB58_220:                             ;   in Loop: Header=BB58_153 Depth=2
	ds_store_b32 v48, v6
.LBB58_221:                             ;   in Loop: Header=BB58_153 Depth=2
	s_or_b32 exec_lo, exec_lo, s3
.LBB58_222:                             ;   in Loop: Header=BB58_153 Depth=2
	s_delay_alu instid0(SALU_CYCLE_1)
	s_or_b32 exec_lo, exec_lo, s31
	s_wait_storecnt_dscnt 0x0
	s_barrier_signal -1
	s_barrier_wait -1
	ds_load_b64 v[30:31], v48
	s_wait_dscnt 0x0
	v_readfirstlane_b32 s4, v31
	s_delay_alu instid0(VALU_DEP_1)
	v_cmp_eq_u32_e32 vcc_lo, s4, v30
	v_mov_b32_e32 v30, s4
	s_cbranch_vccnz .LBB58_152
; %bb.223:                              ;   in Loop: Header=BB58_153 Depth=2
	s_and_saveexec_b32 s3, s0
	s_cbranch_execz .LBB58_151
; %bb.224:                              ;   in Loop: Header=BB58_153 Depth=2
	ds_load_b32 v30, v48 offset:16
	s_mov_b32 s33, 0
	s_wait_dscnt 0x0
	v_dual_mov_b32 v34, v0 :: v_dual_ashrrev_i32 v31, 31, v30
	v_readfirstlane_b32 s31, v30
	s_delay_alu instid0(VALU_DEP_2)
	v_lshlrev_b64_e32 v[30:31], 2, v[30:31]
	s_sub_co_i32 s70, s4, s31
	s_mul_i32 s72, s31, s11
	s_ashr_i32 s71, s70, 31
	s_ashr_i32 s73, s72, 31
	s_mul_u64 s[74:75], s[70:71], s[46:47]
	s_lshl_b64 s[72:73], s[72:73], 3
	s_lshl_b64 s[74:75], s[74:75], 3
	s_cmp_gt_i32 s70, 0
	s_cselect_b32 s31, -1, 0
	s_add_co_i32 s4, s70, -1
	s_delay_alu instid0(SALU_CYCLE_1) | instskip(NEXT) | instid1(SALU_CYCLE_1)
	s_lshl_b64 s[76:77], s[4:5], 2
	v_add_nc_u64_e32 v[30:31], s[76:77], v[30:31]
	s_mul_u64 s[76:77], s[62:63], s[4:5]
	s_delay_alu instid0(SALU_CYCLE_1) | instskip(SKIP_3) | instid1(VALU_DEP_2)
	s_add_nc_u64 s[76:77], s[76:77], s[72:73]
	s_add_nc_u64 s[72:73], s[42:43], s[72:73]
	v_add_nc_u64_e32 v[32:33], s[76:77], v[2:3]
	s_add_nc_u64 s[74:75], s[72:73], s[74:75]
	v_add_nc_u64_e32 v[30:31], s[44:45], v[30:31]
	s_branch .LBB58_226
.LBB58_225:                             ;   in Loop: Header=BB58_226 Depth=3
	s_wait_xcnt 0x0
	v_add_nc_u32_e32 v34, s30, v34
	v_add_nc_u64_e32 v[32:33], s[64:65], v[32:33]
	s_wait_loadcnt 0x0
	global_store_b64 v[38:39], v[36:37], off
	v_cmp_le_i32_e32 vcc_lo, s6, v34
	s_or_b32 s33, vcc_lo, s33
	s_wait_xcnt 0x0
	s_and_not1_b32 exec_lo, exec_lo, s33
	s_cbranch_execz .LBB58_151
.LBB58_226:                             ;   Parent Loop BB58_7 Depth=1
                                        ;     Parent Loop BB58_153 Depth=2
                                        ; =>    This Loop Header: Depth=3
                                        ;         Child Loop BB58_227 Depth 4
	global_load_b64 v[36:37], v34, s[74:75] scale_offset
	v_ashrrev_i32_e32 v35, 31, v34
	v_mov_b64_e32 v[40:41], v[32:33]
	v_mov_b64_e32 v[42:43], v[30:31]
	s_and_not1_b32 vcc_lo, exec_lo, s31
	s_mov_b32 s4, s70
	v_lshl_add_u64 v[38:39], v[34:35], 3, s[72:73]
	s_cbranch_vccnz .LBB58_225
.LBB58_227:                             ;   Parent Loop BB58_7 Depth=1
                                        ;     Parent Loop BB58_153 Depth=2
                                        ;       Parent Loop BB58_226 Depth=3
                                        ; =>      This Inner Loop Header: Depth=4
	s_wait_xcnt 0x0
	s_delay_alu instid0(VALU_DEP_2)
	v_add_nc_u64_e32 v[44:45], s[60:61], v[42:43]
	s_mul_u64 s[76:77], s[4:5], s[46:47]
	s_add_co_i32 s35, s4, -1
	v_lshl_add_u64 v[54:55], s[76:77], 3, v[38:39]
	s_cmp_eq_u32 s35, 0
	s_mov_b32 s4, s35
	global_load_b64 v[46:47], v[40:41], off
	s_clause 0x1
	global_load_b32 v6, v[44:45], off
	global_load_b32 v44, v[42:43], off
	s_wait_xcnt 0x0
	v_add_nc_u64_e32 v[42:43], -4, v[42:43]
	v_add_nc_u64_e32 v[40:41], s[66:67], v[40:41]
	s_wait_loadcnt 0x1
	v_pk_mul_f32 v[52:53], v[6:7], v[46:47] op_sel_hi:[0,1]
	s_wait_loadcnt 0x0
	v_pk_mul_f32 v[46:47], v[44:45], v[46:47] op_sel_hi:[0,1]
	s_delay_alu instid0(VALU_DEP_2) | instskip(NEXT) | instid1(VALU_DEP_2)
	v_pk_fma_f32 v[44:45], v[36:37], v[44:45], v[52:53] op_sel_hi:[1,0,1] neg_lo:[0,0,1] neg_hi:[0,0,1]
	v_pk_fma_f32 v[36:37], v[36:37], v[6:7], v[46:47] op_sel_hi:[1,0,1]
	global_store_b64 v[54:55], v[44:45], off
	s_cbranch_scc0 .LBB58_227
	s_branch .LBB58_225
.LBB58_228:                             ;   in Loop: Header=BB58_153 Depth=2
	s_or_b32 exec_lo, exec_lo, s35
                                        ; implicit-def: $vgpr6
	s_and_not1_saveexec_b32 s3, s33
	s_cbranch_execnz .LBB58_220
	s_branch .LBB58_221
.LBB58_229:
	s_mov_b32 s3, exec_lo
	v_cmpx_gt_i32_e64 s34, v0
	s_cbranch_execz .LBB58_235
; %bb.230:
	v_ashrrev_i32_e32 v1, 31, v0
	s_lshl_b64 s[0:1], s[38:39], 2
	s_lshl_b64 s[4:5], s[36:37], 2
	s_add_nc_u64 s[0:1], s[20:21], s[0:1]
	s_ashr_i32 s31, s30, 31
	v_lshl_add_u64 v[2:3], v[0:1], 2, s[0:1]
	v_mov_b32_e32 v1, 0
	s_add_nc_u64 s[0:1], s[14:15], s[4:5]
	s_lshl_b64 s[4:5], s[30:31], 2
	s_mov_b32 s7, 0
	s_branch .LBB58_232
.LBB58_231:                             ;   in Loop: Header=BB58_232 Depth=1
	s_wait_xcnt 0x0
	s_or_b32 exec_lo, exec_lo, s10
	v_add_nc_u32_e32 v0, s30, v0
	v_add_nc_u64_e32 v[2:3], s[4:5], v[2:3]
	s_delay_alu instid0(VALU_DEP_2) | instskip(SKIP_1) | instid1(SALU_CYCLE_1)
	v_cmp_le_i32_e32 vcc_lo, s34, v0
	s_or_b32 s7, vcc_lo, s7
	s_and_not1_b32 exec_lo, exec_lo, s7
	s_cbranch_execz .LBB58_235
.LBB58_232:                             ; =>This Inner Loop Header: Depth=1
	global_load_b32 v4, v[2:3], off
	s_mov_b32 s10, exec_lo
	s_wait_loadcnt 0x0
	s_wait_xcnt 0x0
	v_cmpx_neq_f32_e32 0, v4
	s_cbranch_execz .LBB58_231
; %bb.233:                              ;   in Loop: Header=BB58_232 Depth=1
	s_mov_b32 s14, exec_lo
	s_delay_alu instid0(SALU_CYCLE_1) | instskip(NEXT) | instid1(VALU_DEP_1)
	v_mbcnt_lo_u32_b32 v4, s14, 0
	v_cmp_eq_u32_e32 vcc_lo, 0, v4
	s_and_b32 s15, exec_lo, vcc_lo
	s_delay_alu instid0(SALU_CYCLE_1)
	s_mov_b32 exec_lo, s15
	s_cbranch_execz .LBB58_231
; %bb.234:                              ;   in Loop: Header=BB58_232 Depth=1
	s_bcnt1_i32_b32 s14, s14
	s_delay_alu instid0(SALU_CYCLE_1)
	v_mov_b32_e32 v4, s14
	global_atomic_add_u32 v1, v4, s[0:1] scope:SCOPE_DEV
	s_branch .LBB58_231
.LBB58_235:
	s_or_b32 exec_lo, exec_lo, s3
	s_cmp_lt_i32 s6, 2
	s_cbranch_scc1 .LBB58_248
; %bb.236:
	s_lshl_b64 s[0:1], s[12:13], 3
	s_lshl_b64 s[4:5], s[22:23], 3
	v_mov_b32_e32 v0, 0
	s_add_nc_u64 s[12:13], s[16:17], s[28:29]
	s_add_nc_u64 s[4:5], s[0:1], s[4:5]
	s_add_nc_u64 s[0:1], s[12:13], 4
	s_add_nc_u64 s[4:5], s[8:9], s[4:5]
	s_mov_b32 s8, 1
	s_branch .LBB58_238
.LBB58_237:                             ;   in Loop: Header=BB58_238 Depth=1
	s_add_co_i32 s8, s8, 1
	s_add_nc_u64 s[0:1], s[0:1], 4
	s_cmp_lg_u32 s8, s6
	s_wait_storecnt 0x0
	s_barrier_signal -1
	s_barrier_wait -1
	s_cbranch_scc0 .LBB58_248
.LBB58_238:                             ; =>This Loop Header: Depth=1
                                        ;     Child Loop BB58_241 Depth 2
                                        ;     Child Loop BB58_247 Depth 2
	s_and_saveexec_b32 s3, s2
	s_cbranch_execz .LBB58_245
; %bb.239:                              ;   in Loop: Header=BB58_238 Depth=1
	s_add_co_i32 s7, s8, -1
	s_delay_alu instid0(SALU_CYCLE_1)
	v_dual_mov_b32 v1, s8 :: v_dual_mov_b32 v4, s7
	s_ashr_i32 s9, s8, 31
	s_mov_b64 s[14:15], s[0:1]
	s_lshl_b64 s[12:13], s[8:9], 2
	global_load_b32 v1, v1, s[18:19] offset:-4 scale_offset
	v_mov_b32_e32 v5, s7
	s_add_nc_u64 s[12:13], s[18:19], s[12:13]
	s_mov_b32 s9, s7
	s_mov_b32 s10, s8
	s_wait_loadcnt 0x0
	v_mov_b32_e32 v2, v1
	ds_store_b64 v0, v[4:5]
	ds_store_b32 v0, v1 offset:8
	s_branch .LBB58_241
.LBB58_240:                             ;   in Loop: Header=BB58_241 Depth=2
	s_add_co_i32 s10, s10, 1
	s_wait_xcnt 0x0
	s_add_nc_u64 s[14:15], s[14:15], 4
	s_cmp_eq_u32 s6, s10
	s_cbranch_scc1 .LBB58_243
.LBB58_241:                             ;   Parent Loop BB58_238 Depth=1
                                        ; =>  This Inner Loop Header: Depth=2
	global_load_b32 v3, v0, s[14:15]
	s_wait_loadcnt 0x0
	v_cmp_nlt_f32_e32 vcc_lo, v3, v2
	s_cbranch_vccnz .LBB58_240
; %bb.242:                              ;   in Loop: Header=BB58_241 Depth=2
	v_dual_mov_b32 v4, s10 :: v_dual_mov_b32 v2, v3
	s_mov_b32 s9, s10
	ds_store_2addr_b32 v0, v4, v3 offset0:1 offset1:2
	s_branch .LBB58_240
.LBB58_243:                             ;   in Loop: Header=BB58_238 Depth=1
	s_cmp_lg_u32 s9, s7
	s_cbranch_scc0 .LBB58_245
; %bb.244:                              ;   in Loop: Header=BB58_238 Depth=1
	v_mov_b32_e32 v3, s9
	s_clause 0x1
	global_store_b32 v3, v1, s[18:19] scale_offset
	global_store_b32 v0, v2, s[12:13] offset:-4
.LBB58_245:                             ;   in Loop: Header=BB58_238 Depth=1
	s_wait_xcnt 0x0
	s_or_b32 exec_lo, exec_lo, s3
	s_wait_storecnt_dscnt 0x0
	s_barrier_signal -1
	s_barrier_wait -1
	ds_load_b64 v[2:3], v0
	s_wait_dscnt 0x0
	v_readfirstlane_b32 s3, v2
	v_readfirstlane_b32 s7, v3
	s_cmp_eq_u32 s7, s3
	s_cbranch_scc1 .LBB58_237
; %bb.246:                              ;   in Loop: Header=BB58_238 Depth=1
	s_mul_i32 s12, s7, s11
	s_mul_i32 s14, s3, s11
	s_ashr_i32 s13, s12, 31
	s_ashr_i32 s15, s14, 31
	s_lshl_b64 s[12:13], s[12:13], 3
	s_lshl_b64 s[14:15], s[14:15], 3
	s_add_nc_u64 s[12:13], s[4:5], s[12:13]
	s_add_nc_u64 s[14:15], s[4:5], s[14:15]
	s_mov_b32 s3, s6
.LBB58_247:                             ;   Parent Loop BB58_238 Depth=1
                                        ; =>  This Inner Loop Header: Depth=2
	s_clause 0x1
	global_load_b64 v[2:3], v0, s[12:13]
	global_load_b64 v[4:5], v0, s[14:15]
	s_add_co_i32 s3, s3, -1
	s_wait_loadcnt 0x1
	global_store_b64 v0, v[2:3], s[14:15]
	s_wait_loadcnt 0x0
	global_store_b64 v0, v[4:5], s[12:13]
	s_cmp_lg_u32 s3, 0
	s_wait_xcnt 0x0
	s_add_nc_u64 s[12:13], s[12:13], 8
	s_add_nc_u64 s[14:15], s[14:15], 8
	s_cbranch_scc1 .LBB58_247
	s_branch .LBB58_237
.LBB58_248:
	s_endpgm
	.section	.rodata,"a",@progbits
	.p2align	6, 0x0
	.amdhsa_kernel _ZN9rocsolver6v33100L12steqr_kernelI19rocblas_complex_numIfEfPS3_EEviPT0_lS6_lT1_iilPiS6_iS5_S5_S5_
		.amdhsa_group_segment_fixed_size 36
		.amdhsa_private_segment_fixed_size 0
		.amdhsa_kernarg_size 352
		.amdhsa_user_sgpr_count 2
		.amdhsa_user_sgpr_dispatch_ptr 0
		.amdhsa_user_sgpr_queue_ptr 0
		.amdhsa_user_sgpr_kernarg_segment_ptr 1
		.amdhsa_user_sgpr_dispatch_id 0
		.amdhsa_user_sgpr_kernarg_preload_length 0
		.amdhsa_user_sgpr_kernarg_preload_offset 0
		.amdhsa_user_sgpr_private_segment_size 0
		.amdhsa_wavefront_size32 1
		.amdhsa_uses_dynamic_stack 0
		.amdhsa_enable_private_segment 0
		.amdhsa_system_sgpr_workgroup_id_x 1
		.amdhsa_system_sgpr_workgroup_id_y 1
		.amdhsa_system_sgpr_workgroup_id_z 0
		.amdhsa_system_sgpr_workgroup_info 0
		.amdhsa_system_vgpr_workitem_id 0
		.amdhsa_next_free_vgpr 62
		.amdhsa_next_free_sgpr 84
		.amdhsa_named_barrier_count 0
		.amdhsa_reserve_vcc 1
		.amdhsa_float_round_mode_32 0
		.amdhsa_float_round_mode_16_64 0
		.amdhsa_float_denorm_mode_32 3
		.amdhsa_float_denorm_mode_16_64 3
		.amdhsa_fp16_overflow 0
		.amdhsa_memory_ordered 1
		.amdhsa_forward_progress 1
		.amdhsa_inst_pref_size 120
		.amdhsa_round_robin_scheduling 0
		.amdhsa_exception_fp_ieee_invalid_op 0
		.amdhsa_exception_fp_denorm_src 0
		.amdhsa_exception_fp_ieee_div_zero 0
		.amdhsa_exception_fp_ieee_overflow 0
		.amdhsa_exception_fp_ieee_underflow 0
		.amdhsa_exception_fp_ieee_inexact 0
		.amdhsa_exception_int_div_zero 0
	.end_amdhsa_kernel
	.section	.text._ZN9rocsolver6v33100L12steqr_kernelI19rocblas_complex_numIfEfPS3_EEviPT0_lS6_lT1_iilPiS6_iS5_S5_S5_,"axG",@progbits,_ZN9rocsolver6v33100L12steqr_kernelI19rocblas_complex_numIfEfPS3_EEviPT0_lS6_lT1_iilPiS6_iS5_S5_S5_,comdat
.Lfunc_end58:
	.size	_ZN9rocsolver6v33100L12steqr_kernelI19rocblas_complex_numIfEfPS3_EEviPT0_lS6_lT1_iilPiS6_iS5_S5_S5_, .Lfunc_end58-_ZN9rocsolver6v33100L12steqr_kernelI19rocblas_complex_numIfEfPS3_EEviPT0_lS6_lT1_iilPiS6_iS5_S5_S5_
                                        ; -- End function
	.set _ZN9rocsolver6v33100L12steqr_kernelI19rocblas_complex_numIfEfPS3_EEviPT0_lS6_lT1_iilPiS6_iS5_S5_S5_.num_vgpr, 62
	.set _ZN9rocsolver6v33100L12steqr_kernelI19rocblas_complex_numIfEfPS3_EEviPT0_lS6_lT1_iilPiS6_iS5_S5_S5_.num_agpr, 0
	.set _ZN9rocsolver6v33100L12steqr_kernelI19rocblas_complex_numIfEfPS3_EEviPT0_lS6_lT1_iilPiS6_iS5_S5_S5_.numbered_sgpr, 84
	.set _ZN9rocsolver6v33100L12steqr_kernelI19rocblas_complex_numIfEfPS3_EEviPT0_lS6_lT1_iilPiS6_iS5_S5_S5_.num_named_barrier, 0
	.set _ZN9rocsolver6v33100L12steqr_kernelI19rocblas_complex_numIfEfPS3_EEviPT0_lS6_lT1_iilPiS6_iS5_S5_S5_.private_seg_size, 0
	.set _ZN9rocsolver6v33100L12steqr_kernelI19rocblas_complex_numIfEfPS3_EEviPT0_lS6_lT1_iilPiS6_iS5_S5_S5_.uses_vcc, 1
	.set _ZN9rocsolver6v33100L12steqr_kernelI19rocblas_complex_numIfEfPS3_EEviPT0_lS6_lT1_iilPiS6_iS5_S5_S5_.uses_flat_scratch, 0
	.set _ZN9rocsolver6v33100L12steqr_kernelI19rocblas_complex_numIfEfPS3_EEviPT0_lS6_lT1_iilPiS6_iS5_S5_S5_.has_dyn_sized_stack, 0
	.set _ZN9rocsolver6v33100L12steqr_kernelI19rocblas_complex_numIfEfPS3_EEviPT0_lS6_lT1_iilPiS6_iS5_S5_S5_.has_recursion, 0
	.set _ZN9rocsolver6v33100L12steqr_kernelI19rocblas_complex_numIfEfPS3_EEviPT0_lS6_lT1_iilPiS6_iS5_S5_S5_.has_indirect_call, 0
	.section	.AMDGPU.csdata,"",@progbits
; Kernel info:
; codeLenInByte = 15352
; TotalNumSgprs: 86
; NumVgprs: 62
; ScratchSize: 0
; MemoryBound: 0
; FloatMode: 240
; IeeeMode: 1
; LDSByteSize: 36 bytes/workgroup (compile time only)
; SGPRBlocks: 0
; VGPRBlocks: 3
; NumSGPRsForWavesPerEU: 86
; NumVGPRsForWavesPerEU: 62
; NamedBarCnt: 0
; Occupancy: 16
; WaveLimiterHint : 0
; COMPUTE_PGM_RSRC2:SCRATCH_EN: 0
; COMPUTE_PGM_RSRC2:USER_SGPR: 2
; COMPUTE_PGM_RSRC2:TRAP_HANDLER: 0
; COMPUTE_PGM_RSRC2:TGID_X_EN: 1
; COMPUTE_PGM_RSRC2:TGID_Y_EN: 1
; COMPUTE_PGM_RSRC2:TGID_Z_EN: 0
; COMPUTE_PGM_RSRC2:TIDIG_COMP_CNT: 0
	.section	.text._ZN9rocsolver6v33100L8copy_matI19rocblas_complex_numIfEfLb0EPS3_TnNSt9enable_ifIX18rocblas_is_complexIT_EEiE4typeELi0EEEvNS0_17copymat_directionEiiT2_iilPT0_13rocblas_fill_17rocblas_diagonal_,"axG",@progbits,_ZN9rocsolver6v33100L8copy_matI19rocblas_complex_numIfEfLb0EPS3_TnNSt9enable_ifIX18rocblas_is_complexIT_EEiE4typeELi0EEEvNS0_17copymat_directionEiiT2_iilPT0_13rocblas_fill_17rocblas_diagonal_,comdat
	.globl	_ZN9rocsolver6v33100L8copy_matI19rocblas_complex_numIfEfLb0EPS3_TnNSt9enable_ifIX18rocblas_is_complexIT_EEiE4typeELi0EEEvNS0_17copymat_directionEiiT2_iilPT0_13rocblas_fill_17rocblas_diagonal_ ; -- Begin function _ZN9rocsolver6v33100L8copy_matI19rocblas_complex_numIfEfLb0EPS3_TnNSt9enable_ifIX18rocblas_is_complexIT_EEiE4typeELi0EEEvNS0_17copymat_directionEiiT2_iilPT0_13rocblas_fill_17rocblas_diagonal_
	.p2align	8
	.type	_ZN9rocsolver6v33100L8copy_matI19rocblas_complex_numIfEfLb0EPS3_TnNSt9enable_ifIX18rocblas_is_complexIT_EEiE4typeELi0EEEvNS0_17copymat_directionEiiT2_iilPT0_13rocblas_fill_17rocblas_diagonal_,@function
_ZN9rocsolver6v33100L8copy_matI19rocblas_complex_numIfEfLb0EPS3_TnNSt9enable_ifIX18rocblas_is_complexIT_EEiE4typeELi0EEEvNS0_17copymat_directionEiiT2_iilPT0_13rocblas_fill_17rocblas_diagonal_: ; @_ZN9rocsolver6v33100L8copy_matI19rocblas_complex_numIfEfLb0EPS3_TnNSt9enable_ifIX18rocblas_is_complexIT_EEiE4typeELi0EEEvNS0_17copymat_directionEiiT2_iilPT0_13rocblas_fill_17rocblas_diagonal_
; %bb.0:
	s_clause 0x1
	s_load_b32 s2, s[0:1], 0x44
	s_load_b96 s[12:14], s[0:1], 0x0
	s_bfe_u32 s5, ttmp6, 0x4000c
	s_bfe_u32 s7, ttmp6, 0x40010
	s_and_b32 s6, ttmp7, 0xffff
	s_add_co_i32 s5, s5, 1
	s_add_co_i32 s7, s7, 1
	s_and_b32 s4, ttmp6, 15
	s_bfe_u32 s8, ttmp6, 0x40004
	s_mul_i32 s5, ttmp9, s5
	s_mul_i32 s7, s6, s7
	s_getreg_b32 s3, hwreg(HW_REG_IB_STS2, 6, 4)
	v_bfe_u32 v1, v0, 10, 10
	v_and_b32_e32 v0, 0x3ff, v0
	s_add_co_i32 s4, s4, s5
	s_add_co_i32 s8, s8, s7
	s_wait_kmcnt 0x0
	s_lshr_b32 s5, s2, 16
	s_and_b32 s2, s2, 0xffff
	s_cmp_eq_u32 s3, 0
	s_cselect_b32 s4, ttmp9, s4
	s_cselect_b32 s6, s6, s8
	v_mad_u32 v0, s4, s2, v0
	v_mad_u32 v1, s6, s5, v1
	s_delay_alu instid0(VALU_DEP_2) | instskip(NEXT) | instid1(VALU_DEP_2)
	v_cmp_gt_u32_e32 vcc_lo, s13, v0
	v_cmp_gt_u32_e64 s2, s14, v1
	s_and_b32 s2, s2, vcc_lo
	s_delay_alu instid0(SALU_CYCLE_1)
	s_and_saveexec_b32 s4, s2
	s_cbranch_execz .LBB59_16
; %bb.1:
	s_load_b64 s[4:5], s[0:1], 0x30
	s_wait_kmcnt 0x0
	s_cmp_lt_i32 s4, 0x7a
	s_cbranch_scc1 .LBB59_4
; %bb.2:
	s_cmp_gt_i32 s4, 0x7a
	s_cbranch_scc0 .LBB59_5
; %bb.3:
	s_cmp_lg_u32 s4, 0x7b
	s_mov_b32 s6, -1
	s_cselect_b32 s7, -1, 0
	s_cbranch_execz .LBB59_6
	s_branch .LBB59_7
.LBB59_4:
	s_mov_b32 s7, 0
	s_mov_b32 s6, 0
	s_cbranch_execnz .LBB59_8
	s_branch .LBB59_10
.LBB59_5:
	s_mov_b32 s6, 0
	s_mov_b32 s7, 0
.LBB59_6:
	v_cmp_gt_u32_e32 vcc_lo, v0, v1
	v_cmp_le_u32_e64 s2, v0, v1
	s_and_not1_b32 s6, s6, exec_lo
	s_and_not1_b32 s7, s7, exec_lo
	s_and_b32 s8, vcc_lo, exec_lo
	s_and_b32 s2, s2, exec_lo
	s_or_b32 s6, s6, s8
	s_or_b32 s7, s7, s2
.LBB59_7:
	s_branch .LBB59_10
.LBB59_8:
	s_cmp_eq_u32 s4, 0x79
	s_mov_b32 s7, -1
	s_cbranch_scc0 .LBB59_10
; %bb.9:
	v_cmp_gt_u32_e32 vcc_lo, v1, v0
	v_cmp_le_u32_e64 s2, v1, v0
	s_and_not1_b32 s4, s6, exec_lo
	s_and_b32 s6, vcc_lo, exec_lo
	s_or_not1_b32 s7, s2, exec_lo
	s_or_b32 s6, s4, s6
.LBB59_10:
	s_and_saveexec_b32 s2, s7
; %bb.11:
	v_cmp_eq_u32_e32 vcc_lo, v0, v1
	s_cmp_eq_u32 s5, 0x83
	s_cselect_b32 s4, -1, 0
	s_and_not1_b32 s5, s6, exec_lo
	s_and_b32 s4, s4, vcc_lo
	s_delay_alu instid0(SALU_CYCLE_1) | instskip(NEXT) | instid1(SALU_CYCLE_1)
	s_and_b32 s4, s4, exec_lo
	s_or_b32 s6, s5, s4
; %bb.12:
	s_or_b32 exec_lo, exec_lo, s2
	s_delay_alu instid0(SALU_CYCLE_1)
	s_and_b32 exec_lo, exec_lo, s6
	s_cbranch_execz .LBB59_16
; %bb.13:
	s_load_b256 s[4:11], s[0:1], 0x10
	s_wait_xcnt 0x0
	s_bfe_u32 s0, ttmp6, 0x40014
	s_lshr_b32 s2, ttmp7, 16
	s_add_co_i32 s0, s0, 1
	s_ashr_i32 s17, s13, 31
	s_mov_b32 s16, s13
	s_bfe_u32 s13, ttmp6, 0x40008
	s_mul_i32 s0, s2, s0
	s_ashr_i32 s15, s14, 31
	s_add_co_i32 s13, s13, s0
	s_mov_b32 s1, 0
	v_mad_u32 v2, v1, s16, v0
	v_mov_b32_e32 v5, 0
	s_wait_kmcnt 0x0
	s_ashr_i32 s19, s6, 31
	s_cmp_eq_u32 s3, 0
	v_mad_u32 v4, v1, s7, v0
	s_cselect_b32 s0, s2, s13
	s_mov_b32 s18, s6
	s_mul_u64 s[2:3], s[8:9], s[0:1]
	s_mul_u64 s[6:7], s[16:17], s[0:1]
	s_lshl_b64 s[2:3], s[2:3], 3
	s_delay_alu instid0(SALU_CYCLE_1) | instskip(SKIP_1) | instid1(SALU_CYCLE_1)
	s_add_nc_u64 s[2:3], s[4:5], s[2:3]
	s_lshl_b64 s[4:5], s[18:19], 3
	s_add_nc_u64 s[2:3], s[2:3], s[4:5]
	s_mul_u64 s[4:5], s[6:7], s[14:15]
	s_delay_alu instid0(VALU_DEP_1)
	v_lshl_add_u64 v[0:1], v[4:5], 3, s[2:3]
	s_lshl_b64 s[2:3], s[4:5], 2
	s_cmp_lg_u32 s12, 0
	s_add_nc_u64 s[2:3], s[10:11], s[2:3]
	s_cbranch_scc0 .LBB59_17
; %bb.14:
	global_load_b32 v3, v2, s[2:3] scale_offset
	s_wait_loadcnt 0x0
	global_store_b32 v[0:1], v3, off offset:4
	s_and_not1_b32 vcc_lo, exec_lo, s1
	s_cbranch_vccnz .LBB59_16
.LBB59_15:
	global_load_b32 v0, v[0:1], off offset:4
	s_wait_loadcnt 0x0
	global_store_b32 v2, v0, s[2:3] scale_offset
.LBB59_16:
	s_endpgm
.LBB59_17:
	s_branch .LBB59_15
	.section	.rodata,"a",@progbits
	.p2align	6, 0x0
	.amdhsa_kernel _ZN9rocsolver6v33100L8copy_matI19rocblas_complex_numIfEfLb0EPS3_TnNSt9enable_ifIX18rocblas_is_complexIT_EEiE4typeELi0EEEvNS0_17copymat_directionEiiT2_iilPT0_13rocblas_fill_17rocblas_diagonal_
		.amdhsa_group_segment_fixed_size 0
		.amdhsa_private_segment_fixed_size 0
		.amdhsa_kernarg_size 312
		.amdhsa_user_sgpr_count 2
		.amdhsa_user_sgpr_dispatch_ptr 0
		.amdhsa_user_sgpr_queue_ptr 0
		.amdhsa_user_sgpr_kernarg_segment_ptr 1
		.amdhsa_user_sgpr_dispatch_id 0
		.amdhsa_user_sgpr_kernarg_preload_length 0
		.amdhsa_user_sgpr_kernarg_preload_offset 0
		.amdhsa_user_sgpr_private_segment_size 0
		.amdhsa_wavefront_size32 1
		.amdhsa_uses_dynamic_stack 0
		.amdhsa_enable_private_segment 0
		.amdhsa_system_sgpr_workgroup_id_x 1
		.amdhsa_system_sgpr_workgroup_id_y 1
		.amdhsa_system_sgpr_workgroup_id_z 1
		.amdhsa_system_sgpr_workgroup_info 0
		.amdhsa_system_vgpr_workitem_id 1
		.amdhsa_next_free_vgpr 6
		.amdhsa_next_free_sgpr 20
		.amdhsa_named_barrier_count 0
		.amdhsa_reserve_vcc 1
		.amdhsa_float_round_mode_32 0
		.amdhsa_float_round_mode_16_64 0
		.amdhsa_float_denorm_mode_32 3
		.amdhsa_float_denorm_mode_16_64 3
		.amdhsa_fp16_overflow 0
		.amdhsa_memory_ordered 1
		.amdhsa_forward_progress 1
		.amdhsa_inst_pref_size 5
		.amdhsa_round_robin_scheduling 0
		.amdhsa_exception_fp_ieee_invalid_op 0
		.amdhsa_exception_fp_denorm_src 0
		.amdhsa_exception_fp_ieee_div_zero 0
		.amdhsa_exception_fp_ieee_overflow 0
		.amdhsa_exception_fp_ieee_underflow 0
		.amdhsa_exception_fp_ieee_inexact 0
		.amdhsa_exception_int_div_zero 0
	.end_amdhsa_kernel
	.section	.text._ZN9rocsolver6v33100L8copy_matI19rocblas_complex_numIfEfLb0EPS3_TnNSt9enable_ifIX18rocblas_is_complexIT_EEiE4typeELi0EEEvNS0_17copymat_directionEiiT2_iilPT0_13rocblas_fill_17rocblas_diagonal_,"axG",@progbits,_ZN9rocsolver6v33100L8copy_matI19rocblas_complex_numIfEfLb0EPS3_TnNSt9enable_ifIX18rocblas_is_complexIT_EEiE4typeELi0EEEvNS0_17copymat_directionEiiT2_iilPT0_13rocblas_fill_17rocblas_diagonal_,comdat
.Lfunc_end59:
	.size	_ZN9rocsolver6v33100L8copy_matI19rocblas_complex_numIfEfLb0EPS3_TnNSt9enable_ifIX18rocblas_is_complexIT_EEiE4typeELi0EEEvNS0_17copymat_directionEiiT2_iilPT0_13rocblas_fill_17rocblas_diagonal_, .Lfunc_end59-_ZN9rocsolver6v33100L8copy_matI19rocblas_complex_numIfEfLb0EPS3_TnNSt9enable_ifIX18rocblas_is_complexIT_EEiE4typeELi0EEEvNS0_17copymat_directionEiiT2_iilPT0_13rocblas_fill_17rocblas_diagonal_
                                        ; -- End function
	.set _ZN9rocsolver6v33100L8copy_matI19rocblas_complex_numIfEfLb0EPS3_TnNSt9enable_ifIX18rocblas_is_complexIT_EEiE4typeELi0EEEvNS0_17copymat_directionEiiT2_iilPT0_13rocblas_fill_17rocblas_diagonal_.num_vgpr, 6
	.set _ZN9rocsolver6v33100L8copy_matI19rocblas_complex_numIfEfLb0EPS3_TnNSt9enable_ifIX18rocblas_is_complexIT_EEiE4typeELi0EEEvNS0_17copymat_directionEiiT2_iilPT0_13rocblas_fill_17rocblas_diagonal_.num_agpr, 0
	.set _ZN9rocsolver6v33100L8copy_matI19rocblas_complex_numIfEfLb0EPS3_TnNSt9enable_ifIX18rocblas_is_complexIT_EEiE4typeELi0EEEvNS0_17copymat_directionEiiT2_iilPT0_13rocblas_fill_17rocblas_diagonal_.numbered_sgpr, 20
	.set _ZN9rocsolver6v33100L8copy_matI19rocblas_complex_numIfEfLb0EPS3_TnNSt9enable_ifIX18rocblas_is_complexIT_EEiE4typeELi0EEEvNS0_17copymat_directionEiiT2_iilPT0_13rocblas_fill_17rocblas_diagonal_.num_named_barrier, 0
	.set _ZN9rocsolver6v33100L8copy_matI19rocblas_complex_numIfEfLb0EPS3_TnNSt9enable_ifIX18rocblas_is_complexIT_EEiE4typeELi0EEEvNS0_17copymat_directionEiiT2_iilPT0_13rocblas_fill_17rocblas_diagonal_.private_seg_size, 0
	.set _ZN9rocsolver6v33100L8copy_matI19rocblas_complex_numIfEfLb0EPS3_TnNSt9enable_ifIX18rocblas_is_complexIT_EEiE4typeELi0EEEvNS0_17copymat_directionEiiT2_iilPT0_13rocblas_fill_17rocblas_diagonal_.uses_vcc, 1
	.set _ZN9rocsolver6v33100L8copy_matI19rocblas_complex_numIfEfLb0EPS3_TnNSt9enable_ifIX18rocblas_is_complexIT_EEiE4typeELi0EEEvNS0_17copymat_directionEiiT2_iilPT0_13rocblas_fill_17rocblas_diagonal_.uses_flat_scratch, 0
	.set _ZN9rocsolver6v33100L8copy_matI19rocblas_complex_numIfEfLb0EPS3_TnNSt9enable_ifIX18rocblas_is_complexIT_EEiE4typeELi0EEEvNS0_17copymat_directionEiiT2_iilPT0_13rocblas_fill_17rocblas_diagonal_.has_dyn_sized_stack, 0
	.set _ZN9rocsolver6v33100L8copy_matI19rocblas_complex_numIfEfLb0EPS3_TnNSt9enable_ifIX18rocblas_is_complexIT_EEiE4typeELi0EEEvNS0_17copymat_directionEiiT2_iilPT0_13rocblas_fill_17rocblas_diagonal_.has_recursion, 0
	.set _ZN9rocsolver6v33100L8copy_matI19rocblas_complex_numIfEfLb0EPS3_TnNSt9enable_ifIX18rocblas_is_complexIT_EEiE4typeELi0EEEvNS0_17copymat_directionEiiT2_iilPT0_13rocblas_fill_17rocblas_diagonal_.has_indirect_call, 0
	.section	.AMDGPU.csdata,"",@progbits
; Kernel info:
; codeLenInByte = 632
; TotalNumSgprs: 22
; NumVgprs: 6
; ScratchSize: 0
; MemoryBound: 0
; FloatMode: 240
; IeeeMode: 1
; LDSByteSize: 0 bytes/workgroup (compile time only)
; SGPRBlocks: 0
; VGPRBlocks: 0
; NumSGPRsForWavesPerEU: 22
; NumVGPRsForWavesPerEU: 6
; NamedBarCnt: 0
; Occupancy: 16
; WaveLimiterHint : 0
; COMPUTE_PGM_RSRC2:SCRATCH_EN: 0
; COMPUTE_PGM_RSRC2:USER_SGPR: 2
; COMPUTE_PGM_RSRC2:TRAP_HANDLER: 0
; COMPUTE_PGM_RSRC2:TGID_X_EN: 1
; COMPUTE_PGM_RSRC2:TGID_Y_EN: 1
; COMPUTE_PGM_RSRC2:TGID_Z_EN: 1
; COMPUTE_PGM_RSRC2:TIDIG_COMP_CNT: 1
	.section	.text._ZN9rocsolver6v33100L8set_zeroI19rocblas_complex_numIfEPS3_EEviiT0_iil13rocblas_fill_,"axG",@progbits,_ZN9rocsolver6v33100L8set_zeroI19rocblas_complex_numIfEPS3_EEviiT0_iil13rocblas_fill_,comdat
	.globl	_ZN9rocsolver6v33100L8set_zeroI19rocblas_complex_numIfEPS3_EEviiT0_iil13rocblas_fill_ ; -- Begin function _ZN9rocsolver6v33100L8set_zeroI19rocblas_complex_numIfEPS3_EEviiT0_iil13rocblas_fill_
	.p2align	8
	.type	_ZN9rocsolver6v33100L8set_zeroI19rocblas_complex_numIfEPS3_EEviiT0_iil13rocblas_fill_,@function
_ZN9rocsolver6v33100L8set_zeroI19rocblas_complex_numIfEPS3_EEviiT0_iil13rocblas_fill_: ; @_ZN9rocsolver6v33100L8set_zeroI19rocblas_complex_numIfEPS3_EEviiT0_iil13rocblas_fill_
; %bb.0:
	s_clause 0x1
	s_load_b32 s2, s[0:1], 0x34
	s_load_b64 s[4:5], s[0:1], 0x0
	s_bfe_u32 s7, ttmp6, 0x40010
	s_bfe_u32 s10, ttmp6, 0x4000c
	s_and_b32 s6, ttmp7, 0xffff
	s_add_co_i32 s7, s7, 1
	s_add_co_i32 s10, s10, 1
	s_bfe_u32 s8, ttmp6, 0x40004
	s_and_b32 s9, ttmp6, 15
	s_mul_i32 s7, s6, s7
	s_mul_i32 s10, ttmp9, s10
	s_getreg_b32 s3, hwreg(HW_REG_IB_STS2, 6, 4)
	v_and_b32_e32 v1, 0x3ff, v0
	v_bfe_u32 v2, v0, 10, 10
	s_add_co_i32 s8, s8, s7
	s_add_co_i32 s9, s9, s10
	s_wait_kmcnt 0x0
	s_lshr_b32 s7, s2, 16
	s_and_b32 s2, s2, 0xffff
	s_cmp_eq_u32 s3, 0
	s_cselect_b32 s9, ttmp9, s9
	s_cselect_b32 s6, s6, s8
	v_mad_u32 v0, s9, s2, v1
	v_mad_u32 v1, s6, s7, v2
	s_delay_alu instid0(VALU_DEP_2) | instskip(NEXT) | instid1(VALU_DEP_2)
	v_cmp_gt_u32_e32 vcc_lo, s4, v0
	v_cmp_gt_u32_e64 s2, s5, v1
	s_and_b32 s2, vcc_lo, s2
	s_delay_alu instid0(SALU_CYCLE_1)
	s_and_saveexec_b32 s4, s2
	s_cbranch_execz .LBB60_12
; %bb.1:
	s_load_b32 s4, s[0:1], 0x20
	s_wait_kmcnt 0x0
	s_cmp_lt_i32 s4, 0x7a
	s_cbranch_scc1 .LBB60_4
; %bb.2:
	s_cmp_gt_i32 s4, 0x7a
	s_cbranch_scc0 .LBB60_5
; %bb.3:
	s_cmp_eq_u32 s4, 0x7b
	s_cselect_b32 s2, -1, 0
	s_cbranch_execz .LBB60_6
	s_branch .LBB60_7
.LBB60_4:
	s_mov_b32 s2, 0
	s_cbranch_execnz .LBB60_8
	s_branch .LBB60_10
.LBB60_5:
	s_mov_b32 s2, 0
.LBB60_6:
	v_cmp_gt_u32_e32 vcc_lo, v1, v0
	s_and_not1_b32 s2, s2, exec_lo
	s_and_b32 s5, vcc_lo, exec_lo
	s_delay_alu instid0(SALU_CYCLE_1)
	s_or_b32 s2, s2, s5
.LBB60_7:
	s_branch .LBB60_10
.LBB60_8:
	s_cmp_eq_u32 s4, 0x79
	s_cbranch_scc0 .LBB60_10
; %bb.9:
	v_cmp_gt_u32_e32 vcc_lo, v0, v1
	s_and_not1_b32 s2, s2, exec_lo
	s_and_b32 s4, vcc_lo, exec_lo
	s_delay_alu instid0(SALU_CYCLE_1)
	s_or_b32 s2, s2, s4
.LBB60_10:
	s_delay_alu instid0(SALU_CYCLE_1)
	s_and_b32 exec_lo, exec_lo, s2
	s_cbranch_execz .LBB60_12
; %bb.11:
	s_clause 0x1
	s_load_b128 s[4:7], s[0:1], 0x8
	s_load_b64 s[8:9], s[0:1], 0x18
	s_wait_xcnt 0x0
	s_bfe_u32 s0, ttmp6, 0x40014
	s_lshr_b32 s2, ttmp7, 16
	s_add_co_i32 s0, s0, 1
	s_bfe_u32 s10, ttmp6, 0x40008
	s_mul_i32 s0, s2, s0
	s_mov_b32 s1, 0
	s_add_co_i32 s10, s10, s0
	s_wait_kmcnt 0x0
	s_ashr_i32 s11, s6, 31
	s_cmp_eq_u32 s3, 0
	v_mad_u32 v2, v1, s7, v0
	s_cselect_b32 s0, s2, s10
	v_mov_b64_e32 v[0:1], 0
	s_mul_u64 s[0:1], s[8:9], s[0:1]
	s_mov_b32 s10, s6
	s_lshl_b64 s[0:1], s[0:1], 3
	s_lshl_b64 s[2:3], s[10:11], 3
	s_add_nc_u64 s[0:1], s[4:5], s[0:1]
	s_delay_alu instid0(SALU_CYCLE_1)
	s_add_nc_u64 s[0:1], s[0:1], s[2:3]
	global_store_b64 v2, v[0:1], s[0:1] scale_offset
.LBB60_12:
	s_endpgm
	.section	.rodata,"a",@progbits
	.p2align	6, 0x0
	.amdhsa_kernel _ZN9rocsolver6v33100L8set_zeroI19rocblas_complex_numIfEPS3_EEviiT0_iil13rocblas_fill_
		.amdhsa_group_segment_fixed_size 0
		.amdhsa_private_segment_fixed_size 0
		.amdhsa_kernarg_size 296
		.amdhsa_user_sgpr_count 2
		.amdhsa_user_sgpr_dispatch_ptr 0
		.amdhsa_user_sgpr_queue_ptr 0
		.amdhsa_user_sgpr_kernarg_segment_ptr 1
		.amdhsa_user_sgpr_dispatch_id 0
		.amdhsa_user_sgpr_kernarg_preload_length 0
		.amdhsa_user_sgpr_kernarg_preload_offset 0
		.amdhsa_user_sgpr_private_segment_size 0
		.amdhsa_wavefront_size32 1
		.amdhsa_uses_dynamic_stack 0
		.amdhsa_enable_private_segment 0
		.amdhsa_system_sgpr_workgroup_id_x 1
		.amdhsa_system_sgpr_workgroup_id_y 1
		.amdhsa_system_sgpr_workgroup_id_z 1
		.amdhsa_system_sgpr_workgroup_info 0
		.amdhsa_system_vgpr_workitem_id 1
		.amdhsa_next_free_vgpr 3
		.amdhsa_next_free_sgpr 12
		.amdhsa_named_barrier_count 0
		.amdhsa_reserve_vcc 1
		.amdhsa_float_round_mode_32 0
		.amdhsa_float_round_mode_16_64 0
		.amdhsa_float_denorm_mode_32 3
		.amdhsa_float_denorm_mode_16_64 3
		.amdhsa_fp16_overflow 0
		.amdhsa_memory_ordered 1
		.amdhsa_forward_progress 1
		.amdhsa_inst_pref_size 4
		.amdhsa_round_robin_scheduling 0
		.amdhsa_exception_fp_ieee_invalid_op 0
		.amdhsa_exception_fp_denorm_src 0
		.amdhsa_exception_fp_ieee_div_zero 0
		.amdhsa_exception_fp_ieee_overflow 0
		.amdhsa_exception_fp_ieee_underflow 0
		.amdhsa_exception_fp_ieee_inexact 0
		.amdhsa_exception_int_div_zero 0
	.end_amdhsa_kernel
	.section	.text._ZN9rocsolver6v33100L8set_zeroI19rocblas_complex_numIfEPS3_EEviiT0_iil13rocblas_fill_,"axG",@progbits,_ZN9rocsolver6v33100L8set_zeroI19rocblas_complex_numIfEPS3_EEviiT0_iil13rocblas_fill_,comdat
.Lfunc_end60:
	.size	_ZN9rocsolver6v33100L8set_zeroI19rocblas_complex_numIfEPS3_EEviiT0_iil13rocblas_fill_, .Lfunc_end60-_ZN9rocsolver6v33100L8set_zeroI19rocblas_complex_numIfEPS3_EEviiT0_iil13rocblas_fill_
                                        ; -- End function
	.set _ZN9rocsolver6v33100L8set_zeroI19rocblas_complex_numIfEPS3_EEviiT0_iil13rocblas_fill_.num_vgpr, 3
	.set _ZN9rocsolver6v33100L8set_zeroI19rocblas_complex_numIfEPS3_EEviiT0_iil13rocblas_fill_.num_agpr, 0
	.set _ZN9rocsolver6v33100L8set_zeroI19rocblas_complex_numIfEPS3_EEviiT0_iil13rocblas_fill_.numbered_sgpr, 12
	.set _ZN9rocsolver6v33100L8set_zeroI19rocblas_complex_numIfEPS3_EEviiT0_iil13rocblas_fill_.num_named_barrier, 0
	.set _ZN9rocsolver6v33100L8set_zeroI19rocblas_complex_numIfEPS3_EEviiT0_iil13rocblas_fill_.private_seg_size, 0
	.set _ZN9rocsolver6v33100L8set_zeroI19rocblas_complex_numIfEPS3_EEviiT0_iil13rocblas_fill_.uses_vcc, 1
	.set _ZN9rocsolver6v33100L8set_zeroI19rocblas_complex_numIfEPS3_EEviiT0_iil13rocblas_fill_.uses_flat_scratch, 0
	.set _ZN9rocsolver6v33100L8set_zeroI19rocblas_complex_numIfEPS3_EEviiT0_iil13rocblas_fill_.has_dyn_sized_stack, 0
	.set _ZN9rocsolver6v33100L8set_zeroI19rocblas_complex_numIfEPS3_EEviiT0_iil13rocblas_fill_.has_recursion, 0
	.set _ZN9rocsolver6v33100L8set_zeroI19rocblas_complex_numIfEPS3_EEviiT0_iil13rocblas_fill_.has_indirect_call, 0
	.section	.AMDGPU.csdata,"",@progbits
; Kernel info:
; codeLenInByte = 448
; TotalNumSgprs: 14
; NumVgprs: 3
; ScratchSize: 0
; MemoryBound: 0
; FloatMode: 240
; IeeeMode: 1
; LDSByteSize: 0 bytes/workgroup (compile time only)
; SGPRBlocks: 0
; VGPRBlocks: 0
; NumSGPRsForWavesPerEU: 14
; NumVGPRsForWavesPerEU: 3
; NamedBarCnt: 0
; Occupancy: 16
; WaveLimiterHint : 0
; COMPUTE_PGM_RSRC2:SCRATCH_EN: 0
; COMPUTE_PGM_RSRC2:USER_SGPR: 2
; COMPUTE_PGM_RSRC2:TRAP_HANDLER: 0
; COMPUTE_PGM_RSRC2:TGID_X_EN: 1
; COMPUTE_PGM_RSRC2:TGID_Y_EN: 1
; COMPUTE_PGM_RSRC2:TGID_Z_EN: 1
; COMPUTE_PGM_RSRC2:TIDIG_COMP_CNT: 1
	.section	.text._ZN9rocsolver6v33100L8copy_matI19rocblas_complex_numIfEfLb1EPS3_TnNSt9enable_ifIX18rocblas_is_complexIT_EEiE4typeELi0EEEvNS0_17copymat_directionEiiT2_iilPT0_13rocblas_fill_17rocblas_diagonal_,"axG",@progbits,_ZN9rocsolver6v33100L8copy_matI19rocblas_complex_numIfEfLb1EPS3_TnNSt9enable_ifIX18rocblas_is_complexIT_EEiE4typeELi0EEEvNS0_17copymat_directionEiiT2_iilPT0_13rocblas_fill_17rocblas_diagonal_,comdat
	.globl	_ZN9rocsolver6v33100L8copy_matI19rocblas_complex_numIfEfLb1EPS3_TnNSt9enable_ifIX18rocblas_is_complexIT_EEiE4typeELi0EEEvNS0_17copymat_directionEiiT2_iilPT0_13rocblas_fill_17rocblas_diagonal_ ; -- Begin function _ZN9rocsolver6v33100L8copy_matI19rocblas_complex_numIfEfLb1EPS3_TnNSt9enable_ifIX18rocblas_is_complexIT_EEiE4typeELi0EEEvNS0_17copymat_directionEiiT2_iilPT0_13rocblas_fill_17rocblas_diagonal_
	.p2align	8
	.type	_ZN9rocsolver6v33100L8copy_matI19rocblas_complex_numIfEfLb1EPS3_TnNSt9enable_ifIX18rocblas_is_complexIT_EEiE4typeELi0EEEvNS0_17copymat_directionEiiT2_iilPT0_13rocblas_fill_17rocblas_diagonal_,@function
_ZN9rocsolver6v33100L8copy_matI19rocblas_complex_numIfEfLb1EPS3_TnNSt9enable_ifIX18rocblas_is_complexIT_EEiE4typeELi0EEEvNS0_17copymat_directionEiiT2_iilPT0_13rocblas_fill_17rocblas_diagonal_: ; @_ZN9rocsolver6v33100L8copy_matI19rocblas_complex_numIfEfLb1EPS3_TnNSt9enable_ifIX18rocblas_is_complexIT_EEiE4typeELi0EEEvNS0_17copymat_directionEiiT2_iilPT0_13rocblas_fill_17rocblas_diagonal_
; %bb.0:
	s_clause 0x1
	s_load_b32 s2, s[0:1], 0x44
	s_load_b96 s[12:14], s[0:1], 0x0
	s_bfe_u32 s5, ttmp6, 0x4000c
	s_bfe_u32 s7, ttmp6, 0x40010
	s_and_b32 s6, ttmp7, 0xffff
	s_add_co_i32 s5, s5, 1
	s_add_co_i32 s7, s7, 1
	s_and_b32 s4, ttmp6, 15
	s_bfe_u32 s8, ttmp6, 0x40004
	s_mul_i32 s5, ttmp9, s5
	s_mul_i32 s7, s6, s7
	s_getreg_b32 s3, hwreg(HW_REG_IB_STS2, 6, 4)
	v_bfe_u32 v1, v0, 10, 10
	v_and_b32_e32 v0, 0x3ff, v0
	s_add_co_i32 s4, s4, s5
	s_add_co_i32 s8, s8, s7
	s_wait_kmcnt 0x0
	s_lshr_b32 s5, s2, 16
	s_and_b32 s2, s2, 0xffff
	s_cmp_eq_u32 s3, 0
	s_cselect_b32 s4, ttmp9, s4
	s_cselect_b32 s6, s6, s8
	v_mad_u32 v0, s4, s2, v0
	v_mad_u32 v1, s6, s5, v1
	s_delay_alu instid0(VALU_DEP_2) | instskip(NEXT) | instid1(VALU_DEP_2)
	v_cmp_gt_u32_e32 vcc_lo, s13, v0
	v_cmp_gt_u32_e64 s2, s14, v1
	s_and_b32 s2, s2, vcc_lo
	s_delay_alu instid0(SALU_CYCLE_1)
	s_and_saveexec_b32 s4, s2
	s_cbranch_execz .LBB61_16
; %bb.1:
	s_load_b64 s[4:5], s[0:1], 0x30
	s_wait_kmcnt 0x0
	s_cmp_lt_i32 s4, 0x7a
	s_cbranch_scc1 .LBB61_4
; %bb.2:
	s_cmp_gt_i32 s4, 0x7a
	s_cbranch_scc0 .LBB61_5
; %bb.3:
	s_cmp_lg_u32 s4, 0x7b
	s_mov_b32 s6, -1
	s_cselect_b32 s7, -1, 0
	s_cbranch_execz .LBB61_6
	s_branch .LBB61_7
.LBB61_4:
	s_mov_b32 s7, 0
	s_mov_b32 s6, 0
	s_cbranch_execnz .LBB61_8
	s_branch .LBB61_10
.LBB61_5:
	s_mov_b32 s6, 0
	s_mov_b32 s7, 0
.LBB61_6:
	v_cmp_gt_u32_e32 vcc_lo, v0, v1
	v_cmp_le_u32_e64 s2, v0, v1
	s_and_not1_b32 s6, s6, exec_lo
	s_and_not1_b32 s7, s7, exec_lo
	s_and_b32 s8, vcc_lo, exec_lo
	s_and_b32 s2, s2, exec_lo
	s_or_b32 s6, s6, s8
	s_or_b32 s7, s7, s2
.LBB61_7:
	s_branch .LBB61_10
.LBB61_8:
	s_cmp_eq_u32 s4, 0x79
	s_mov_b32 s7, -1
	s_cbranch_scc0 .LBB61_10
; %bb.9:
	v_cmp_gt_u32_e32 vcc_lo, v1, v0
	v_cmp_le_u32_e64 s2, v1, v0
	s_and_not1_b32 s4, s6, exec_lo
	s_and_b32 s6, vcc_lo, exec_lo
	s_or_not1_b32 s7, s2, exec_lo
	s_or_b32 s6, s4, s6
.LBB61_10:
	s_and_saveexec_b32 s2, s7
; %bb.11:
	v_cmp_eq_u32_e32 vcc_lo, v0, v1
	s_cmp_eq_u32 s5, 0x83
	s_cselect_b32 s4, -1, 0
	s_and_not1_b32 s5, s6, exec_lo
	s_and_b32 s4, s4, vcc_lo
	s_delay_alu instid0(SALU_CYCLE_1) | instskip(NEXT) | instid1(SALU_CYCLE_1)
	s_and_b32 s4, s4, exec_lo
	s_or_b32 s6, s5, s4
; %bb.12:
	s_or_b32 exec_lo, exec_lo, s2
	s_delay_alu instid0(SALU_CYCLE_1)
	s_and_b32 exec_lo, exec_lo, s6
	s_cbranch_execz .LBB61_16
; %bb.13:
	s_load_b256 s[4:11], s[0:1], 0x10
	s_wait_xcnt 0x0
	s_bfe_u32 s0, ttmp6, 0x40014
	s_lshr_b32 s2, ttmp7, 16
	s_add_co_i32 s0, s0, 1
	s_ashr_i32 s17, s13, 31
	s_mov_b32 s16, s13
	s_bfe_u32 s13, ttmp6, 0x40008
	s_mul_i32 s0, s2, s0
	s_ashr_i32 s15, s14, 31
	s_add_co_i32 s13, s13, s0
	v_mad_u32 v2, v1, s16, v0
	s_mov_b32 s1, 0
	s_wait_kmcnt 0x0
	s_ashr_i32 s19, s6, 31
	s_cmp_eq_u32 s3, 0
	v_mad_u32 v0, v1, s7, v0
	s_cselect_b32 s0, s2, s13
	s_mov_b32 s18, s6
	s_mul_u64 s[6:7], s[8:9], s[0:1]
	s_mul_u64 s[8:9], s[16:17], s[0:1]
	s_lshl_b64 s[6:7], s[6:7], 3
	s_mul_u64 s[8:9], s[8:9], s[14:15]
	s_lshl_b64 s[2:3], s[18:19], 3
	s_add_nc_u64 s[4:5], s[4:5], s[6:7]
	s_lshl_b64 s[6:7], s[8:9], 2
	s_cmp_lg_u32 s12, 0
	s_add_nc_u64 s[4:5], s[4:5], s[2:3]
	s_add_nc_u64 s[2:3], s[10:11], s[6:7]
	s_cbranch_scc0 .LBB61_17
; %bb.14:
	global_load_b32 v3, v2, s[2:3] scale_offset
	v_mov_b32_e32 v1, 0
	s_delay_alu instid0(VALU_DEP_1)
	v_lshl_add_u64 v[4:5], v[0:1], 3, s[4:5]
	s_wait_loadcnt 0x0
	global_store_b32 v[4:5], v3, off
	s_and_not1_b32 vcc_lo, exec_lo, s1
	s_cbranch_vccnz .LBB61_16
.LBB61_15:
	v_mov_b32_e32 v1, 0
	s_delay_alu instid0(VALU_DEP_1)
	v_lshl_add_u64 v[0:1], v[0:1], 3, s[4:5]
	global_load_b32 v0, v[0:1], off
	s_wait_loadcnt 0x0
	global_store_b32 v2, v0, s[2:3] scale_offset
.LBB61_16:
	s_endpgm
.LBB61_17:
	s_branch .LBB61_15
	.section	.rodata,"a",@progbits
	.p2align	6, 0x0
	.amdhsa_kernel _ZN9rocsolver6v33100L8copy_matI19rocblas_complex_numIfEfLb1EPS3_TnNSt9enable_ifIX18rocblas_is_complexIT_EEiE4typeELi0EEEvNS0_17copymat_directionEiiT2_iilPT0_13rocblas_fill_17rocblas_diagonal_
		.amdhsa_group_segment_fixed_size 0
		.amdhsa_private_segment_fixed_size 0
		.amdhsa_kernarg_size 312
		.amdhsa_user_sgpr_count 2
		.amdhsa_user_sgpr_dispatch_ptr 0
		.amdhsa_user_sgpr_queue_ptr 0
		.amdhsa_user_sgpr_kernarg_segment_ptr 1
		.amdhsa_user_sgpr_dispatch_id 0
		.amdhsa_user_sgpr_kernarg_preload_length 0
		.amdhsa_user_sgpr_kernarg_preload_offset 0
		.amdhsa_user_sgpr_private_segment_size 0
		.amdhsa_wavefront_size32 1
		.amdhsa_uses_dynamic_stack 0
		.amdhsa_enable_private_segment 0
		.amdhsa_system_sgpr_workgroup_id_x 1
		.amdhsa_system_sgpr_workgroup_id_y 1
		.amdhsa_system_sgpr_workgroup_id_z 1
		.amdhsa_system_sgpr_workgroup_info 0
		.amdhsa_system_vgpr_workitem_id 1
		.amdhsa_next_free_vgpr 6
		.amdhsa_next_free_sgpr 20
		.amdhsa_named_barrier_count 0
		.amdhsa_reserve_vcc 1
		.amdhsa_float_round_mode_32 0
		.amdhsa_float_round_mode_16_64 0
		.amdhsa_float_denorm_mode_32 3
		.amdhsa_float_denorm_mode_16_64 3
		.amdhsa_fp16_overflow 0
		.amdhsa_memory_ordered 1
		.amdhsa_forward_progress 1
		.amdhsa_inst_pref_size 6
		.amdhsa_round_robin_scheduling 0
		.amdhsa_exception_fp_ieee_invalid_op 0
		.amdhsa_exception_fp_denorm_src 0
		.amdhsa_exception_fp_ieee_div_zero 0
		.amdhsa_exception_fp_ieee_overflow 0
		.amdhsa_exception_fp_ieee_underflow 0
		.amdhsa_exception_fp_ieee_inexact 0
		.amdhsa_exception_int_div_zero 0
	.end_amdhsa_kernel
	.section	.text._ZN9rocsolver6v33100L8copy_matI19rocblas_complex_numIfEfLb1EPS3_TnNSt9enable_ifIX18rocblas_is_complexIT_EEiE4typeELi0EEEvNS0_17copymat_directionEiiT2_iilPT0_13rocblas_fill_17rocblas_diagonal_,"axG",@progbits,_ZN9rocsolver6v33100L8copy_matI19rocblas_complex_numIfEfLb1EPS3_TnNSt9enable_ifIX18rocblas_is_complexIT_EEiE4typeELi0EEEvNS0_17copymat_directionEiiT2_iilPT0_13rocblas_fill_17rocblas_diagonal_,comdat
.Lfunc_end61:
	.size	_ZN9rocsolver6v33100L8copy_matI19rocblas_complex_numIfEfLb1EPS3_TnNSt9enable_ifIX18rocblas_is_complexIT_EEiE4typeELi0EEEvNS0_17copymat_directionEiiT2_iilPT0_13rocblas_fill_17rocblas_diagonal_, .Lfunc_end61-_ZN9rocsolver6v33100L8copy_matI19rocblas_complex_numIfEfLb1EPS3_TnNSt9enable_ifIX18rocblas_is_complexIT_EEiE4typeELi0EEEvNS0_17copymat_directionEiiT2_iilPT0_13rocblas_fill_17rocblas_diagonal_
                                        ; -- End function
	.set _ZN9rocsolver6v33100L8copy_matI19rocblas_complex_numIfEfLb1EPS3_TnNSt9enable_ifIX18rocblas_is_complexIT_EEiE4typeELi0EEEvNS0_17copymat_directionEiiT2_iilPT0_13rocblas_fill_17rocblas_diagonal_.num_vgpr, 6
	.set _ZN9rocsolver6v33100L8copy_matI19rocblas_complex_numIfEfLb1EPS3_TnNSt9enable_ifIX18rocblas_is_complexIT_EEiE4typeELi0EEEvNS0_17copymat_directionEiiT2_iilPT0_13rocblas_fill_17rocblas_diagonal_.num_agpr, 0
	.set _ZN9rocsolver6v33100L8copy_matI19rocblas_complex_numIfEfLb1EPS3_TnNSt9enable_ifIX18rocblas_is_complexIT_EEiE4typeELi0EEEvNS0_17copymat_directionEiiT2_iilPT0_13rocblas_fill_17rocblas_diagonal_.numbered_sgpr, 20
	.set _ZN9rocsolver6v33100L8copy_matI19rocblas_complex_numIfEfLb1EPS3_TnNSt9enable_ifIX18rocblas_is_complexIT_EEiE4typeELi0EEEvNS0_17copymat_directionEiiT2_iilPT0_13rocblas_fill_17rocblas_diagonal_.num_named_barrier, 0
	.set _ZN9rocsolver6v33100L8copy_matI19rocblas_complex_numIfEfLb1EPS3_TnNSt9enable_ifIX18rocblas_is_complexIT_EEiE4typeELi0EEEvNS0_17copymat_directionEiiT2_iilPT0_13rocblas_fill_17rocblas_diagonal_.private_seg_size, 0
	.set _ZN9rocsolver6v33100L8copy_matI19rocblas_complex_numIfEfLb1EPS3_TnNSt9enable_ifIX18rocblas_is_complexIT_EEiE4typeELi0EEEvNS0_17copymat_directionEiiT2_iilPT0_13rocblas_fill_17rocblas_diagonal_.uses_vcc, 1
	.set _ZN9rocsolver6v33100L8copy_matI19rocblas_complex_numIfEfLb1EPS3_TnNSt9enable_ifIX18rocblas_is_complexIT_EEiE4typeELi0EEEvNS0_17copymat_directionEiiT2_iilPT0_13rocblas_fill_17rocblas_diagonal_.uses_flat_scratch, 0
	.set _ZN9rocsolver6v33100L8copy_matI19rocblas_complex_numIfEfLb1EPS3_TnNSt9enable_ifIX18rocblas_is_complexIT_EEiE4typeELi0EEEvNS0_17copymat_directionEiiT2_iilPT0_13rocblas_fill_17rocblas_diagonal_.has_dyn_sized_stack, 0
	.set _ZN9rocsolver6v33100L8copy_matI19rocblas_complex_numIfEfLb1EPS3_TnNSt9enable_ifIX18rocblas_is_complexIT_EEiE4typeELi0EEEvNS0_17copymat_directionEiiT2_iilPT0_13rocblas_fill_17rocblas_diagonal_.has_recursion, 0
	.set _ZN9rocsolver6v33100L8copy_matI19rocblas_complex_numIfEfLb1EPS3_TnNSt9enable_ifIX18rocblas_is_complexIT_EEiE4typeELi0EEEvNS0_17copymat_directionEiiT2_iilPT0_13rocblas_fill_17rocblas_diagonal_.has_indirect_call, 0
	.section	.AMDGPU.csdata,"",@progbits
; Kernel info:
; codeLenInByte = 644
; TotalNumSgprs: 22
; NumVgprs: 6
; ScratchSize: 0
; MemoryBound: 0
; FloatMode: 240
; IeeeMode: 1
; LDSByteSize: 0 bytes/workgroup (compile time only)
; SGPRBlocks: 0
; VGPRBlocks: 0
; NumSGPRsForWavesPerEU: 22
; NumVGPRsForWavesPerEU: 6
; NamedBarCnt: 0
; Occupancy: 16
; WaveLimiterHint : 0
; COMPUTE_PGM_RSRC2:SCRATCH_EN: 0
; COMPUTE_PGM_RSRC2:USER_SGPR: 2
; COMPUTE_PGM_RSRC2:TRAP_HANDLER: 0
; COMPUTE_PGM_RSRC2:TGID_X_EN: 1
; COMPUTE_PGM_RSRC2:TGID_Y_EN: 1
; COMPUTE_PGM_RSRC2:TGID_Z_EN: 1
; COMPUTE_PGM_RSRC2:TIDIG_COMP_CNT: 1
	.section	.text._ZN9rocsolver6v33100L11stedc_copyCI19rocblas_complex_numIfEPS3_S4_EEviT0_iilT1_iil,"axG",@progbits,_ZN9rocsolver6v33100L11stedc_copyCI19rocblas_complex_numIfEPS3_S4_EEviT0_iilT1_iil,comdat
	.globl	_ZN9rocsolver6v33100L11stedc_copyCI19rocblas_complex_numIfEPS3_S4_EEviT0_iilT1_iil ; -- Begin function _ZN9rocsolver6v33100L11stedc_copyCI19rocblas_complex_numIfEPS3_S4_EEviT0_iilT1_iil
	.p2align	8
	.type	_ZN9rocsolver6v33100L11stedc_copyCI19rocblas_complex_numIfEPS3_S4_EEviT0_iilT1_iil,@function
_ZN9rocsolver6v33100L11stedc_copyCI19rocblas_complex_numIfEPS3_S4_EEviT0_iilT1_iil: ; @_ZN9rocsolver6v33100L11stedc_copyCI19rocblas_complex_numIfEPS3_S4_EEviT0_iilT1_iil
; %bb.0:
	s_clause 0x1
	s_load_b32 s2, s[0:1], 0x44
	s_load_b32 s22, s[0:1], 0x0
	s_wait_kmcnt 0x0
	s_and_b32 s20, s2, 0xffff
	s_add_co_i32 s4, s22, -1
	s_lshl_b32 s21, s20, 4
	s_abs_i32 s5, s4
	s_cvt_f32_u32 s2, s21
	s_sub_co_i32 s3, 0, s21
	s_ashr_i32 s4, s4, 31
	s_delay_alu instid0(SALU_CYCLE_1) | instskip(SKIP_1) | instid1(TRANS32_DEP_1)
	v_rcp_iflag_f32_e32 v1, s2
	v_nop
	v_readfirstlane_b32 s2, v1
	s_mul_f32 s2, s2, 0x4f7ffffe
	s_delay_alu instid0(SALU_CYCLE_3) | instskip(NEXT) | instid1(SALU_CYCLE_3)
	s_cvt_u32_f32 s2, s2
	s_mul_i32 s3, s3, s2
	s_delay_alu instid0(SALU_CYCLE_1) | instskip(NEXT) | instid1(SALU_CYCLE_1)
	s_mul_hi_u32 s3, s2, s3
	s_add_co_i32 s2, s2, s3
	s_delay_alu instid0(SALU_CYCLE_1) | instskip(NEXT) | instid1(SALU_CYCLE_1)
	s_mul_hi_u32 s2, s5, s2
	s_mul_i32 s3, s2, s21
	s_delay_alu instid0(SALU_CYCLE_1)
	s_sub_co_i32 s3, s5, s3
	s_add_co_i32 s5, s2, 1
	s_sub_co_i32 s6, s3, s21
	s_cmp_ge_u32 s3, s21
	s_cselect_b32 s2, s5, s2
	s_cselect_b32 s3, s6, s3
	s_add_co_i32 s5, s2, 1
	s_cmp_ge_u32 s3, s21
	s_cselect_b32 s2, s5, s2
	s_delay_alu instid0(SALU_CYCLE_1) | instskip(NEXT) | instid1(SALU_CYCLE_1)
	s_xor_b32 s2, s2, s4
	s_sub_co_i32 s2, s2, s4
	s_delay_alu instid0(SALU_CYCLE_1)
	s_cmp_lt_i32 s2, 0
	s_cbranch_scc1 .LBB62_67
; %bb.1:
	s_clause 0x1
	s_load_b256 s[4:11], s[0:1], 0x8
	s_load_b128 s[12:15], s[0:1], 0x28
	s_wait_xcnt 0x0
	s_bfe_u32 s1, ttmp6, 0x4000c
	s_bfe_u32 s3, ttmp6, 0x40010
	s_add_co_i32 s1, s1, 1
	s_add_co_i32 s3, s3, 1
	s_and_b32 s0, ttmp6, 15
	s_bfe_u32 s16, ttmp6, 0x40004
	s_mul_i32 s1, ttmp9, s1
	s_mul_i32 s3, ttmp7, s3
	s_getreg_b32 s17, hwreg(HW_REG_IB_STS2, 6, 4)
	s_add_co_i32 s18, s0, s1
	s_add_co_i32 s3, s16, s3
	s_mul_i32 s24, s20, 3
	s_mul_i32 s26, s20, 5
	s_mul_i32 s27, s20, 6
	s_mul_i32 s28, s20, 7
	s_mul_i32 s30, s20, 9
	s_mul_i32 s31, s20, 10
	s_mul_i32 s33, s20, 11
	s_wait_kmcnt 0x0
	s_ashr_i32 s1, s6, 31
	s_cmp_eq_u32 s17, 0
	s_mov_b32 s0, s6
	s_cselect_b32 s23, ttmp9, s18
	s_cselect_b32 s18, ttmp7, s3
	s_mov_b32 s16, s12
	s_ashr_i32 s19, s18, 31
	s_ashr_i32 s17, s12, 31
	s_mul_u64 s[8:9], s[8:9], s[18:19]
	s_mul_u64 s[14:15], s[14:15], s[18:19]
	s_mul_i32 s6, s7, s23
	s_mul_i32 s12, s13, s23
	s_lshl_b64 s[8:9], s[8:9], 3
	s_lshl_b64 s[14:15], s[14:15], 3
	;; [unrolled: 1-line block ×4, first 2 shown]
	s_ashr_i32 s7, s6, 31
	s_add_nc_u64 s[4:5], s[4:5], s[8:9]
	s_add_nc_u64 s[8:9], s[10:11], s[14:15]
	s_ashr_i32 s13, s12, 31
	s_add_nc_u64 s[0:1], s[4:5], s[0:1]
	s_add_nc_u64 s[4:5], s[8:9], s[16:17]
	s_lshl_b64 s[6:7], s[6:7], 3
	s_lshl_b64 s[8:9], s[12:13], 3
	s_add_nc_u64 s[16:17], s[0:1], s[6:7]
	s_add_nc_u64 s[18:19], s[4:5], s[8:9]
	s_add_co_i32 s15, s2, 1
	s_lshl_b32 s23, s20, 1
	s_lshl_b32 s25, s20, 2
	;; [unrolled: 1-line block ×3, first 2 shown]
	s_mul_i32 s34, s20, 12
	s_mul_i32 s35, s20, 13
	s_mul_i32 s36, s20, 14
	s_mul_i32 s37, s20, 15
                                        ; implicit-def: $vgpr2_vgpr3
                                        ; implicit-def: $vgpr4_vgpr5
                                        ; implicit-def: $vgpr6_vgpr7
                                        ; implicit-def: $vgpr8_vgpr9
                                        ; implicit-def: $vgpr10_vgpr11
                                        ; implicit-def: $vgpr12_vgpr13
                                        ; implicit-def: $vgpr14_vgpr15
                                        ; implicit-def: $vgpr16_vgpr17
                                        ; implicit-def: $vgpr18_vgpr19
                                        ; implicit-def: $vgpr20_vgpr21
                                        ; implicit-def: $vgpr22_vgpr23
                                        ; implicit-def: $vgpr24_vgpr25
                                        ; implicit-def: $vgpr26_vgpr27
                                        ; implicit-def: $vgpr28_vgpr29
                                        ; implicit-def: $vgpr30_vgpr31
                                        ; implicit-def: $vgpr32_vgpr33
	s_branch .LBB62_3
.LBB62_2:                               ;   in Loop: Header=BB62_3 Depth=1
	s_wait_xcnt 0x0
	s_or_b32 exec_lo, exec_lo, s0
	v_add_nc_u32_e32 v0, s21, v0
	s_add_co_i32 s15, s15, -1
	s_delay_alu instid0(SALU_CYCLE_1)
	s_cmp_eq_u32 s15, 0
	s_cbranch_scc1 .LBB62_67
.LBB62_3:                               ; =>This Inner Loop Header: Depth=1
	s_delay_alu instid0(VALU_DEP_1)
	v_cmp_gt_i32_e32 vcc_lo, s22, v0
	s_and_saveexec_b32 s0, vcc_lo
	s_cbranch_execz .LBB62_5
; %bb.4:                                ;   in Loop: Header=BB62_3 Depth=1
	s_wait_loadcnt 0x0
	global_load_b64 v[32:33], v0, s[16:17] scale_offset
.LBB62_5:                               ;   in Loop: Header=BB62_3 Depth=1
	s_wait_xcnt 0x0
	s_or_b32 exec_lo, exec_lo, s0
	v_add_nc_u32_e32 v1, s20, v0
	s_delay_alu instid0(VALU_DEP_1)
	v_cmp_gt_i32_e64 s0, s22, v1
	s_and_saveexec_b32 s1, s0
	s_cbranch_execz .LBB62_7
; %bb.6:                                ;   in Loop: Header=BB62_3 Depth=1
	s_wait_loadcnt 0x0
	global_load_b64 v[30:31], v1, s[16:17] scale_offset
.LBB62_7:                               ;   in Loop: Header=BB62_3 Depth=1
	s_wait_xcnt 0x0
	s_or_b32 exec_lo, exec_lo, s1
	v_dual_add_nc_u32 v35, s20, v1 :: v_dual_add_nc_u32 v34, s23, v0
	s_delay_alu instid0(VALU_DEP_1)
	v_cmp_gt_i32_e64 s1, s22, v35
	s_and_saveexec_b32 s2, s1
	s_cbranch_execz .LBB62_9
; %bb.8:                                ;   in Loop: Header=BB62_3 Depth=1
	s_wait_loadcnt 0x0
	global_load_b64 v[28:29], v34, s[16:17] scale_offset
.LBB62_9:                               ;   in Loop: Header=BB62_3 Depth=1
	s_wait_xcnt 0x0
	s_or_b32 exec_lo, exec_lo, s2
	v_dual_add_nc_u32 v36, s20, v35 :: v_dual_add_nc_u32 v35, s24, v0
	s_delay_alu instid0(VALU_DEP_1)
	v_cmp_gt_i32_e64 s2, s22, v36
	s_and_saveexec_b32 s3, s2
	s_cbranch_execz .LBB62_11
; %bb.10:                               ;   in Loop: Header=BB62_3 Depth=1
	s_wait_loadcnt 0x0
	global_load_b64 v[26:27], v35, s[16:17] scale_offset
.LBB62_11:                              ;   in Loop: Header=BB62_3 Depth=1
	s_wait_xcnt 0x0
	s_or_b32 exec_lo, exec_lo, s3
	v_add_nc_u32_e32 v37, s20, v36
	v_add_nc_u32_e32 v36, s25, v0
	s_delay_alu instid0(VALU_DEP_2)
	v_cmp_gt_i32_e64 s3, s22, v37
	s_and_saveexec_b32 s4, s3
	s_cbranch_execz .LBB62_13
; %bb.12:                               ;   in Loop: Header=BB62_3 Depth=1
	s_wait_loadcnt 0x0
	global_load_b64 v[24:25], v36, s[16:17] scale_offset
.LBB62_13:                              ;   in Loop: Header=BB62_3 Depth=1
	s_wait_xcnt 0x0
	s_or_b32 exec_lo, exec_lo, s4
	v_dual_add_nc_u32 v38, s20, v37 :: v_dual_add_nc_u32 v37, s26, v0
	s_delay_alu instid0(VALU_DEP_1)
	v_cmp_gt_i32_e64 s4, s22, v38
	s_and_saveexec_b32 s5, s4
	s_cbranch_execz .LBB62_15
; %bb.14:                               ;   in Loop: Header=BB62_3 Depth=1
	s_wait_loadcnt 0x0
	global_load_b64 v[22:23], v37, s[16:17] scale_offset
.LBB62_15:                              ;   in Loop: Header=BB62_3 Depth=1
	s_wait_xcnt 0x0
	s_or_b32 exec_lo, exec_lo, s5
	v_dual_add_nc_u32 v39, s20, v38 :: v_dual_add_nc_u32 v38, s27, v0
	s_delay_alu instid0(VALU_DEP_1)
	v_cmp_gt_i32_e64 s5, s22, v39
	s_and_saveexec_b32 s6, s5
	s_cbranch_execz .LBB62_17
; %bb.16:                               ;   in Loop: Header=BB62_3 Depth=1
	s_wait_loadcnt 0x0
	global_load_b64 v[20:21], v38, s[16:17] scale_offset
.LBB62_17:                              ;   in Loop: Header=BB62_3 Depth=1
	s_wait_xcnt 0x0
	s_or_b32 exec_lo, exec_lo, s6
	v_dual_add_nc_u32 v40, s20, v39 :: v_dual_add_nc_u32 v39, s28, v0
	s_delay_alu instid0(VALU_DEP_1)
	v_cmp_gt_i32_e64 s6, s22, v40
	s_and_saveexec_b32 s7, s6
	s_cbranch_execz .LBB62_19
; %bb.18:                               ;   in Loop: Header=BB62_3 Depth=1
	s_wait_loadcnt 0x0
	global_load_b64 v[18:19], v39, s[16:17] scale_offset
.LBB62_19:                              ;   in Loop: Header=BB62_3 Depth=1
	s_wait_xcnt 0x0
	s_or_b32 exec_lo, exec_lo, s7
	v_add_nc_u32_e32 v41, s20, v40
	v_add_nc_u32_e32 v40, s29, v0
	s_delay_alu instid0(VALU_DEP_2)
	v_cmp_gt_i32_e64 s7, s22, v41
	s_and_saveexec_b32 s8, s7
	s_cbranch_execz .LBB62_21
; %bb.20:                               ;   in Loop: Header=BB62_3 Depth=1
	s_wait_loadcnt 0x0
	global_load_b64 v[16:17], v40, s[16:17] scale_offset
.LBB62_21:                              ;   in Loop: Header=BB62_3 Depth=1
	s_wait_xcnt 0x0
	s_or_b32 exec_lo, exec_lo, s8
	v_dual_add_nc_u32 v42, s20, v41 :: v_dual_add_nc_u32 v41, s30, v0
	s_delay_alu instid0(VALU_DEP_1)
	v_cmp_gt_i32_e64 s8, s22, v42
	s_and_saveexec_b32 s9, s8
	s_cbranch_execz .LBB62_23
; %bb.22:                               ;   in Loop: Header=BB62_3 Depth=1
	s_wait_loadcnt 0x0
	global_load_b64 v[14:15], v41, s[16:17] scale_offset
.LBB62_23:                              ;   in Loop: Header=BB62_3 Depth=1
	s_wait_xcnt 0x0
	s_or_b32 exec_lo, exec_lo, s9
	v_dual_add_nc_u32 v43, s20, v42 :: v_dual_add_nc_u32 v42, s31, v0
	s_delay_alu instid0(VALU_DEP_1)
	v_cmp_gt_i32_e64 s9, s22, v43
	s_and_saveexec_b32 s10, s9
	s_cbranch_execz .LBB62_25
; %bb.24:                               ;   in Loop: Header=BB62_3 Depth=1
	s_wait_loadcnt 0x0
	global_load_b64 v[12:13], v42, s[16:17] scale_offset
.LBB62_25:                              ;   in Loop: Header=BB62_3 Depth=1
	;; [unrolled: 45-line block ×3, first 2 shown]
	s_wait_xcnt 0x0
	s_or_b32 exec_lo, exec_lo, s14
	v_dual_add_nc_u32 v48, s20, v47 :: v_dual_add_nc_u32 v47, s37, v0
	s_delay_alu instid0(VALU_DEP_1)
	v_cmp_gt_i32_e64 s14, s22, v48
	s_and_saveexec_b32 s38, s14
	s_cbranch_execnz .LBB62_50
; %bb.34:                               ;   in Loop: Header=BB62_3 Depth=1
	s_or_b32 exec_lo, exec_lo, s38
	s_and_saveexec_b32 s38, vcc_lo
	s_cbranch_execnz .LBB62_51
.LBB62_35:                              ;   in Loop: Header=BB62_3 Depth=1
	s_or_b32 exec_lo, exec_lo, s38
	s_and_saveexec_b32 s38, s0
	s_cbranch_execnz .LBB62_52
.LBB62_36:                              ;   in Loop: Header=BB62_3 Depth=1
	s_or_b32 exec_lo, exec_lo, s38
	s_and_saveexec_b32 s0, s1
	s_cbranch_execnz .LBB62_53
.LBB62_37:                              ;   in Loop: Header=BB62_3 Depth=1
	s_or_b32 exec_lo, exec_lo, s0
	s_and_saveexec_b32 s0, s2
	s_cbranch_execnz .LBB62_54
.LBB62_38:                              ;   in Loop: Header=BB62_3 Depth=1
	s_or_b32 exec_lo, exec_lo, s0
	s_and_saveexec_b32 s0, s3
	s_cbranch_execnz .LBB62_55
.LBB62_39:                              ;   in Loop: Header=BB62_3 Depth=1
	s_or_b32 exec_lo, exec_lo, s0
	s_and_saveexec_b32 s0, s4
	s_cbranch_execnz .LBB62_56
.LBB62_40:                              ;   in Loop: Header=BB62_3 Depth=1
	s_or_b32 exec_lo, exec_lo, s0
	s_and_saveexec_b32 s0, s5
	s_cbranch_execnz .LBB62_57
.LBB62_41:                              ;   in Loop: Header=BB62_3 Depth=1
	s_or_b32 exec_lo, exec_lo, s0
	s_and_saveexec_b32 s0, s6
	s_cbranch_execnz .LBB62_58
.LBB62_42:                              ;   in Loop: Header=BB62_3 Depth=1
	s_or_b32 exec_lo, exec_lo, s0
	s_and_saveexec_b32 s0, s7
	s_cbranch_execnz .LBB62_59
.LBB62_43:                              ;   in Loop: Header=BB62_3 Depth=1
	s_or_b32 exec_lo, exec_lo, s0
	s_and_saveexec_b32 s0, s8
	s_cbranch_execnz .LBB62_60
.LBB62_44:                              ;   in Loop: Header=BB62_3 Depth=1
	s_or_b32 exec_lo, exec_lo, s0
	s_and_saveexec_b32 s0, s9
	s_cbranch_execnz .LBB62_61
.LBB62_45:                              ;   in Loop: Header=BB62_3 Depth=1
	s_or_b32 exec_lo, exec_lo, s0
	s_and_saveexec_b32 s0, s10
	s_cbranch_execnz .LBB62_62
.LBB62_46:                              ;   in Loop: Header=BB62_3 Depth=1
	s_or_b32 exec_lo, exec_lo, s0
	s_and_saveexec_b32 s0, s11
	s_cbranch_execnz .LBB62_63
.LBB62_47:                              ;   in Loop: Header=BB62_3 Depth=1
	s_or_b32 exec_lo, exec_lo, s0
	s_and_saveexec_b32 s0, s12
	s_cbranch_execnz .LBB62_64
.LBB62_48:                              ;   in Loop: Header=BB62_3 Depth=1
	s_or_b32 exec_lo, exec_lo, s0
	s_and_saveexec_b32 s0, s13
	s_cbranch_execnz .LBB62_65
.LBB62_49:                              ;   in Loop: Header=BB62_3 Depth=1
	s_or_b32 exec_lo, exec_lo, s0
	s_and_saveexec_b32 s0, s14
	s_cbranch_execz .LBB62_2
	s_branch .LBB62_66
.LBB62_50:                              ;   in Loop: Header=BB62_3 Depth=1
	s_wait_loadcnt 0x0
	global_load_b64 v[2:3], v47, s[16:17] scale_offset
	s_wait_xcnt 0x0
	s_or_b32 exec_lo, exec_lo, s38
	s_and_saveexec_b32 s38, vcc_lo
	s_cbranch_execz .LBB62_35
.LBB62_51:                              ;   in Loop: Header=BB62_3 Depth=1
	s_wait_loadcnt 0x0
	global_store_b64 v0, v[32:33], s[18:19] scale_offset
	s_wait_xcnt 0x0
	s_or_b32 exec_lo, exec_lo, s38
	s_and_saveexec_b32 s38, s0
	s_cbranch_execz .LBB62_36
.LBB62_52:                              ;   in Loop: Header=BB62_3 Depth=1
	s_wait_loadcnt 0x0
	global_store_b64 v1, v[30:31], s[18:19] scale_offset
	s_wait_xcnt 0x0
	s_or_b32 exec_lo, exec_lo, s38
	s_and_saveexec_b32 s0, s1
	s_cbranch_execz .LBB62_37
.LBB62_53:                              ;   in Loop: Header=BB62_3 Depth=1
	s_wait_loadcnt 0x0
	global_store_b64 v34, v[28:29], s[18:19] scale_offset
	s_wait_xcnt 0x0
	s_or_b32 exec_lo, exec_lo, s0
	s_and_saveexec_b32 s0, s2
	s_cbranch_execz .LBB62_38
.LBB62_54:                              ;   in Loop: Header=BB62_3 Depth=1
	s_wait_loadcnt 0x0
	global_store_b64 v35, v[26:27], s[18:19] scale_offset
	s_wait_xcnt 0x0
	s_or_b32 exec_lo, exec_lo, s0
	s_and_saveexec_b32 s0, s3
	s_cbranch_execz .LBB62_39
.LBB62_55:                              ;   in Loop: Header=BB62_3 Depth=1
	s_wait_loadcnt 0x0
	global_store_b64 v36, v[24:25], s[18:19] scale_offset
	s_wait_xcnt 0x0
	s_or_b32 exec_lo, exec_lo, s0
	s_and_saveexec_b32 s0, s4
	s_cbranch_execz .LBB62_40
.LBB62_56:                              ;   in Loop: Header=BB62_3 Depth=1
	s_wait_loadcnt 0x0
	global_store_b64 v37, v[22:23], s[18:19] scale_offset
	s_wait_xcnt 0x0
	s_or_b32 exec_lo, exec_lo, s0
	s_and_saveexec_b32 s0, s5
	s_cbranch_execz .LBB62_41
.LBB62_57:                              ;   in Loop: Header=BB62_3 Depth=1
	s_wait_loadcnt 0x0
	global_store_b64 v38, v[20:21], s[18:19] scale_offset
	s_wait_xcnt 0x0
	s_or_b32 exec_lo, exec_lo, s0
	s_and_saveexec_b32 s0, s6
	s_cbranch_execz .LBB62_42
.LBB62_58:                              ;   in Loop: Header=BB62_3 Depth=1
	s_wait_loadcnt 0x0
	global_store_b64 v39, v[18:19], s[18:19] scale_offset
	s_wait_xcnt 0x0
	s_or_b32 exec_lo, exec_lo, s0
	s_and_saveexec_b32 s0, s7
	s_cbranch_execz .LBB62_43
.LBB62_59:                              ;   in Loop: Header=BB62_3 Depth=1
	s_wait_loadcnt 0x0
	global_store_b64 v40, v[16:17], s[18:19] scale_offset
	s_wait_xcnt 0x0
	s_or_b32 exec_lo, exec_lo, s0
	s_and_saveexec_b32 s0, s8
	s_cbranch_execz .LBB62_44
.LBB62_60:                              ;   in Loop: Header=BB62_3 Depth=1
	s_wait_loadcnt 0x0
	global_store_b64 v41, v[14:15], s[18:19] scale_offset
	s_wait_xcnt 0x0
	s_or_b32 exec_lo, exec_lo, s0
	s_and_saveexec_b32 s0, s9
	s_cbranch_execz .LBB62_45
.LBB62_61:                              ;   in Loop: Header=BB62_3 Depth=1
	s_wait_loadcnt 0x0
	global_store_b64 v42, v[12:13], s[18:19] scale_offset
	s_wait_xcnt 0x0
	s_or_b32 exec_lo, exec_lo, s0
	s_and_saveexec_b32 s0, s10
	s_cbranch_execz .LBB62_46
.LBB62_62:                              ;   in Loop: Header=BB62_3 Depth=1
	s_wait_loadcnt 0x0
	global_store_b64 v43, v[10:11], s[18:19] scale_offset
	s_wait_xcnt 0x0
	s_or_b32 exec_lo, exec_lo, s0
	s_and_saveexec_b32 s0, s11
	s_cbranch_execz .LBB62_47
.LBB62_63:                              ;   in Loop: Header=BB62_3 Depth=1
	s_wait_loadcnt 0x0
	global_store_b64 v44, v[8:9], s[18:19] scale_offset
	s_wait_xcnt 0x0
	s_or_b32 exec_lo, exec_lo, s0
	s_and_saveexec_b32 s0, s12
	s_cbranch_execz .LBB62_48
.LBB62_64:                              ;   in Loop: Header=BB62_3 Depth=1
	s_wait_loadcnt 0x0
	global_store_b64 v45, v[6:7], s[18:19] scale_offset
	s_wait_xcnt 0x0
	s_or_b32 exec_lo, exec_lo, s0
	s_and_saveexec_b32 s0, s13
	s_cbranch_execz .LBB62_49
.LBB62_65:                              ;   in Loop: Header=BB62_3 Depth=1
	s_wait_loadcnt 0x0
	global_store_b64 v46, v[4:5], s[18:19] scale_offset
	s_wait_xcnt 0x0
	s_or_b32 exec_lo, exec_lo, s0
	s_and_saveexec_b32 s0, s14
	s_cbranch_execz .LBB62_2
.LBB62_66:                              ;   in Loop: Header=BB62_3 Depth=1
	s_wait_loadcnt 0x0
	global_store_b64 v47, v[2:3], s[18:19] scale_offset
	s_branch .LBB62_2
.LBB62_67:
	s_endpgm
	.section	.rodata,"a",@progbits
	.p2align	6, 0x0
	.amdhsa_kernel _ZN9rocsolver6v33100L11stedc_copyCI19rocblas_complex_numIfEPS3_S4_EEviT0_iilT1_iil
		.amdhsa_group_segment_fixed_size 0
		.amdhsa_private_segment_fixed_size 0
		.amdhsa_kernarg_size 312
		.amdhsa_user_sgpr_count 2
		.amdhsa_user_sgpr_dispatch_ptr 0
		.amdhsa_user_sgpr_queue_ptr 0
		.amdhsa_user_sgpr_kernarg_segment_ptr 1
		.amdhsa_user_sgpr_dispatch_id 0
		.amdhsa_user_sgpr_kernarg_preload_length 0
		.amdhsa_user_sgpr_kernarg_preload_offset 0
		.amdhsa_user_sgpr_private_segment_size 0
		.amdhsa_wavefront_size32 1
		.amdhsa_uses_dynamic_stack 0
		.amdhsa_enable_private_segment 0
		.amdhsa_system_sgpr_workgroup_id_x 1
		.amdhsa_system_sgpr_workgroup_id_y 1
		.amdhsa_system_sgpr_workgroup_id_z 0
		.amdhsa_system_sgpr_workgroup_info 0
		.amdhsa_system_vgpr_workitem_id 0
		.amdhsa_next_free_vgpr 49
		.amdhsa_next_free_sgpr 39
		.amdhsa_named_barrier_count 0
		.amdhsa_reserve_vcc 1
		.amdhsa_float_round_mode_32 0
		.amdhsa_float_round_mode_16_64 0
		.amdhsa_float_denorm_mode_32 3
		.amdhsa_float_denorm_mode_16_64 3
		.amdhsa_fp16_overflow 0
		.amdhsa_memory_ordered 1
		.amdhsa_forward_progress 1
		.amdhsa_inst_pref_size 16
		.amdhsa_round_robin_scheduling 0
		.amdhsa_exception_fp_ieee_invalid_op 0
		.amdhsa_exception_fp_denorm_src 0
		.amdhsa_exception_fp_ieee_div_zero 0
		.amdhsa_exception_fp_ieee_overflow 0
		.amdhsa_exception_fp_ieee_underflow 0
		.amdhsa_exception_fp_ieee_inexact 0
		.amdhsa_exception_int_div_zero 0
	.end_amdhsa_kernel
	.section	.text._ZN9rocsolver6v33100L11stedc_copyCI19rocblas_complex_numIfEPS3_S4_EEviT0_iilT1_iil,"axG",@progbits,_ZN9rocsolver6v33100L11stedc_copyCI19rocblas_complex_numIfEPS3_S4_EEviT0_iilT1_iil,comdat
.Lfunc_end62:
	.size	_ZN9rocsolver6v33100L11stedc_copyCI19rocblas_complex_numIfEPS3_S4_EEviT0_iilT1_iil, .Lfunc_end62-_ZN9rocsolver6v33100L11stedc_copyCI19rocblas_complex_numIfEPS3_S4_EEviT0_iilT1_iil
                                        ; -- End function
	.set _ZN9rocsolver6v33100L11stedc_copyCI19rocblas_complex_numIfEPS3_S4_EEviT0_iilT1_iil.num_vgpr, 49
	.set _ZN9rocsolver6v33100L11stedc_copyCI19rocblas_complex_numIfEPS3_S4_EEviT0_iilT1_iil.num_agpr, 0
	.set _ZN9rocsolver6v33100L11stedc_copyCI19rocblas_complex_numIfEPS3_S4_EEviT0_iilT1_iil.numbered_sgpr, 39
	.set _ZN9rocsolver6v33100L11stedc_copyCI19rocblas_complex_numIfEPS3_S4_EEviT0_iilT1_iil.num_named_barrier, 0
	.set _ZN9rocsolver6v33100L11stedc_copyCI19rocblas_complex_numIfEPS3_S4_EEviT0_iilT1_iil.private_seg_size, 0
	.set _ZN9rocsolver6v33100L11stedc_copyCI19rocblas_complex_numIfEPS3_S4_EEviT0_iilT1_iil.uses_vcc, 1
	.set _ZN9rocsolver6v33100L11stedc_copyCI19rocblas_complex_numIfEPS3_S4_EEviT0_iilT1_iil.uses_flat_scratch, 0
	.set _ZN9rocsolver6v33100L11stedc_copyCI19rocblas_complex_numIfEPS3_S4_EEviT0_iilT1_iil.has_dyn_sized_stack, 0
	.set _ZN9rocsolver6v33100L11stedc_copyCI19rocblas_complex_numIfEPS3_S4_EEviT0_iilT1_iil.has_recursion, 0
	.set _ZN9rocsolver6v33100L11stedc_copyCI19rocblas_complex_numIfEPS3_S4_EEviT0_iilT1_iil.has_indirect_call, 0
	.section	.AMDGPU.csdata,"",@progbits
; Kernel info:
; codeLenInByte = 2028
; TotalNumSgprs: 41
; NumVgprs: 49
; ScratchSize: 0
; MemoryBound: 0
; FloatMode: 240
; IeeeMode: 1
; LDSByteSize: 0 bytes/workgroup (compile time only)
; SGPRBlocks: 0
; VGPRBlocks: 3
; NumSGPRsForWavesPerEU: 41
; NumVGPRsForWavesPerEU: 49
; NamedBarCnt: 0
; Occupancy: 16
; WaveLimiterHint : 0
; COMPUTE_PGM_RSRC2:SCRATCH_EN: 0
; COMPUTE_PGM_RSRC2:USER_SGPR: 2
; COMPUTE_PGM_RSRC2:TRAP_HANDLER: 0
; COMPUTE_PGM_RSRC2:TGID_X_EN: 1
; COMPUTE_PGM_RSRC2:TGID_Y_EN: 1
; COMPUTE_PGM_RSRC2:TGID_Z_EN: 0
; COMPUTE_PGM_RSRC2:TIDIG_COMP_CNT: 0
	.section	.text._ZN9rocsolver6v33100L10stedc_sortI19rocblas_complex_numIfEfPS3_S4_EEviPT0_lS6_lT1_iilT2_iil,"axG",@progbits,_ZN9rocsolver6v33100L10stedc_sortI19rocblas_complex_numIfEfPS3_S4_EEviPT0_lS6_lT1_iilT2_iil,comdat
	.globl	_ZN9rocsolver6v33100L10stedc_sortI19rocblas_complex_numIfEfPS3_S4_EEviPT0_lS6_lT1_iilT2_iil ; -- Begin function _ZN9rocsolver6v33100L10stedc_sortI19rocblas_complex_numIfEfPS3_S4_EEviPT0_lS6_lT1_iilT2_iil
	.p2align	8
	.type	_ZN9rocsolver6v33100L10stedc_sortI19rocblas_complex_numIfEfPS3_S4_EEviPT0_lS6_lT1_iilT2_iil,@function
_ZN9rocsolver6v33100L10stedc_sortI19rocblas_complex_numIfEfPS3_S4_EEviPT0_lS6_lT1_iilT2_iil: ; @_ZN9rocsolver6v33100L10stedc_sortI19rocblas_complex_numIfEfPS3_S4_EEviPT0_lS6_lT1_iilT2_iil
; %bb.0:
	s_clause 0x1
	s_load_b32 s2, s[0:1], 0x64
	s_load_b64 s[28:29], s[0:1], 0x28
	s_bfe_u32 s4, ttmp6, 0x4000c
	s_bfe_u32 s5, ttmp6, 0x40010
	s_add_co_i32 s4, s4, 1
	s_add_co_i32 s5, s5, 1
	s_and_b32 s3, ttmp6, 15
	s_bfe_u32 s6, ttmp6, 0x40004
	s_mul_i32 s4, ttmp9, s4
	s_mul_i32 s5, ttmp7, s5
	s_getreg_b32 s7, hwreg(HW_REG_IB_STS2, 6, 4)
	s_add_co_i32 s3, s3, s4
	s_add_co_i32 s6, s6, s5
	s_cmp_eq_u32 s7, 0
	s_load_b256 s[16:23], s[0:1], 0x8
	s_cselect_b32 s24, ttmp9, s3
	s_cselect_b32 s26, ttmp7, s6
	s_load_b32 s36, s[0:1], 0x0
	s_ashr_i32 s27, s26, 31
	s_ashr_i32 s25, s24, 31
	s_wait_kmcnt 0x0
	s_and_b32 s33, s2, 0xffff
	s_lshl_b64 s[30:31], s[24:25], 2
	s_lshl_b32 s37, s33, 4
	s_mul_i32 s25, s33, 5
	s_cvt_f32_u32 s2, s37
	s_sub_co_i32 s8, 0, s37
	s_mul_i32 s38, s33, 6
	s_mul_i32 s39, s33, 7
	v_rcp_iflag_f32_e32 v1, s2
	s_mov_b32 s2, -1
	s_mul_i32 s40, s33, 9
	s_mul_i32 s41, s33, 10
	;; [unrolled: 1-line block ×4, first 2 shown]
	s_mul_u64 s[4:5], s[18:19], s[26:27]
	v_nop
	v_readfirstlane_b32 s3, v1
	s_lshl_b64 s[4:5], s[4:5], 2
	s_add_co_i32 s6, s36, -1
	s_add_nc_u64 s[34:35], s[16:17], s[4:5]
	s_ashr_i32 s7, s6, 31
	s_mul_f32 s3, s3, 0x4f7ffffe
	s_abs_i32 s6, s6
	s_add_nc_u64 s[4:5], s[34:35], s[30:31]
	s_mul_i32 s19, s33, 3
	s_cvt_u32_f32 s3, s3
	s_load_b32 s48, s[4:5], 0x0
	s_mul_i32 s44, s33, 13
	s_mul_i32 s45, s33, 14
	;; [unrolled: 1-line block ×4, first 2 shown]
	s_mul_hi_u32 s8, s3, s8
	s_delay_alu instid0(SALU_CYCLE_1) | instskip(NEXT) | instid1(SALU_CYCLE_1)
	s_add_co_i32 s3, s3, s8
	s_mul_hi_u32 s3, s6, s3
	s_delay_alu instid0(SALU_CYCLE_1) | instskip(SKIP_3) | instid1(SALU_CYCLE_1)
	s_mul_i32 s8, s3, s37
	s_wait_xcnt 0x0
	s_add_co_i32 s5, s3, 1
	s_sub_co_i32 s4, s6, s8
	s_sub_co_i32 s6, s4, s37
	s_cmp_ge_u32 s4, s37
	s_cselect_b32 s3, s5, s3
	s_cselect_b32 s4, s6, s4
	s_add_co_i32 s5, s3, 1
	s_cmp_ge_u32 s4, s37
	s_cselect_b32 s3, s5, s3
	s_delay_alu instid0(SALU_CYCLE_1) | instskip(NEXT) | instid1(SALU_CYCLE_1)
	s_xor_b32 s3, s3, s7
	s_sub_co_i32 s47, s3, s7
	s_delay_alu instid0(SALU_CYCLE_1)
	s_cmp_gt_i32 s47, -1
	s_cselect_b32 s49, -1, 0
	s_cmp_lt_i32 s47, 0
	s_cbranch_scc1 .LBB63_67
; %bb.1:
	v_dual_mov_b32 v1, 0 :: v_dual_mov_b32 v18, v0
	v_dual_mov_b32 v19, 0 :: v_dual_mov_b32 v20, 0
	s_add_co_i32 s50, s47, 1
	s_lshl_b32 s51, s33, 1
	s_lshl_b32 s52, s33, 2
	;; [unrolled: 1-line block ×3, first 2 shown]
                                        ; implicit-def: $vgpr5
                                        ; implicit-def: $vgpr7
                                        ; implicit-def: $vgpr9
                                        ; implicit-def: $vgpr11
                                        ; implicit-def: $vgpr13
                                        ; implicit-def: $vgpr15
                                        ; implicit-def: $vgpr17
                                        ; implicit-def: $vgpr3
	s_branch .LBB63_3
.LBB63_2:                               ;   in Loop: Header=BB63_3 Depth=1
	s_or_b32 exec_lo, exec_lo, s4
	v_add_nc_u32_e32 v18, s37, v18
	s_add_co_i32 s50, s50, -1
	s_delay_alu instid0(SALU_CYCLE_1)
	s_cmp_eq_u32 s50, 0
	s_cbranch_scc1 .LBB63_68
.LBB63_3:                               ; =>This Inner Loop Header: Depth=1
	s_delay_alu instid0(VALU_DEP_1)
	v_cmp_gt_i32_e64 s16, s36, v18
	s_and_saveexec_b32 s2, s16
	s_cbranch_execz .LBB63_5
; %bb.4:                                ;   in Loop: Header=BB63_3 Depth=1
	s_wait_loadcnt 0x0
	global_load_b32 v2, v18, s[34:35] scale_offset
.LBB63_5:                               ;   in Loop: Header=BB63_3 Depth=1
	s_wait_xcnt 0x0
	s_or_b32 exec_lo, exec_lo, s2
	v_add_nc_u32_e32 v35, s33, v18
	s_delay_alu instid0(VALU_DEP_1)
	v_cmp_gt_i32_e64 s15, s36, v35
	s_and_saveexec_b32 s2, s15
	s_cbranch_execz .LBB63_7
; %bb.6:                                ;   in Loop: Header=BB63_3 Depth=1
	s_wait_loadcnt 0x0
	global_load_b32 v3, v35, s[34:35] scale_offset
.LBB63_7:                               ;   in Loop: Header=BB63_3 Depth=1
	s_wait_xcnt 0x0
	s_or_b32 exec_lo, exec_lo, s2
	v_add_nc_u32_e32 v34, s51, v18
	;; [unrolled: 11-line block ×3, first 2 shown]
	s_delay_alu instid0(VALU_DEP_1)
	v_cmp_gt_i32_e64 s13, s36, v33
	s_and_saveexec_b32 s2, s13
	s_cbranch_execz .LBB63_11
; %bb.10:                               ;   in Loop: Header=BB63_3 Depth=1
	s_wait_loadcnt 0x0
	global_load_b32 v17, v33, s[34:35] scale_offset
.LBB63_11:                              ;   in Loop: Header=BB63_3 Depth=1
	s_wait_xcnt 0x0
	s_or_b32 exec_lo, exec_lo, s2
	v_add_nc_u32_e32 v32, s52, v18
	s_delay_alu instid0(VALU_DEP_1)
	v_cmp_gt_i32_e64 s12, s36, v32
	s_and_saveexec_b32 s2, s12
	s_cbranch_execz .LBB63_13
; %bb.12:                               ;   in Loop: Header=BB63_3 Depth=1
	s_wait_loadcnt 0x0
	global_load_b32 v14, v32, s[34:35] scale_offset
.LBB63_13:                              ;   in Loop: Header=BB63_3 Depth=1
	s_wait_xcnt 0x0
	s_or_b32 exec_lo, exec_lo, s2
	v_add_nc_u32_e32 v31, s25, v18
	;; [unrolled: 11-line block ×12, first 2 shown]
	s_delay_alu instid0(VALU_DEP_1)
	v_cmp_gt_i32_e32 vcc_lo, s36, v21
	s_and_saveexec_b32 s17, vcc_lo
	s_cbranch_execnz .LBB63_50
; %bb.34:                               ;   in Loop: Header=BB63_3 Depth=1
	s_or_b32 exec_lo, exec_lo, s17
	s_and_saveexec_b32 s54, s16
	s_cbranch_execnz .LBB63_51
.LBB63_35:                              ;   in Loop: Header=BB63_3 Depth=1
	s_or_b32 exec_lo, exec_lo, s54
	s_and_saveexec_b32 s18, s15
	s_cbranch_execnz .LBB63_52
.LBB63_36:                              ;   in Loop: Header=BB63_3 Depth=1
	s_or_b32 exec_lo, exec_lo, s18
	s_and_saveexec_b32 s17, s14
	s_cbranch_execnz .LBB63_53
.LBB63_37:                              ;   in Loop: Header=BB63_3 Depth=1
	s_or_b32 exec_lo, exec_lo, s17
	s_and_saveexec_b32 s16, s13
	s_cbranch_execnz .LBB63_54
.LBB63_38:                              ;   in Loop: Header=BB63_3 Depth=1
	s_or_b32 exec_lo, exec_lo, s16
	s_and_saveexec_b32 s15, s12
	s_cbranch_execnz .LBB63_55
.LBB63_39:                              ;   in Loop: Header=BB63_3 Depth=1
	s_or_b32 exec_lo, exec_lo, s15
	s_and_saveexec_b32 s14, s11
	s_cbranch_execnz .LBB63_56
.LBB63_40:                              ;   in Loop: Header=BB63_3 Depth=1
	s_or_b32 exec_lo, exec_lo, s14
	s_and_saveexec_b32 s13, s10
	s_cbranch_execnz .LBB63_57
.LBB63_41:                              ;   in Loop: Header=BB63_3 Depth=1
	s_or_b32 exec_lo, exec_lo, s13
	s_and_saveexec_b32 s12, s9
	s_cbranch_execnz .LBB63_58
.LBB63_42:                              ;   in Loop: Header=BB63_3 Depth=1
	s_or_b32 exec_lo, exec_lo, s12
	s_and_saveexec_b32 s11, s8
	s_cbranch_execnz .LBB63_59
.LBB63_43:                              ;   in Loop: Header=BB63_3 Depth=1
	s_or_b32 exec_lo, exec_lo, s11
	s_and_saveexec_b32 s10, s7
	s_cbranch_execnz .LBB63_60
.LBB63_44:                              ;   in Loop: Header=BB63_3 Depth=1
	s_or_b32 exec_lo, exec_lo, s10
	s_and_saveexec_b32 s9, s6
	s_cbranch_execnz .LBB63_61
.LBB63_45:                              ;   in Loop: Header=BB63_3 Depth=1
	s_or_b32 exec_lo, exec_lo, s9
	s_and_saveexec_b32 s8, s5
	s_cbranch_execnz .LBB63_62
.LBB63_46:                              ;   in Loop: Header=BB63_3 Depth=1
	s_or_b32 exec_lo, exec_lo, s8
	s_and_saveexec_b32 s7, s4
	s_cbranch_execnz .LBB63_63
.LBB63_47:                              ;   in Loop: Header=BB63_3 Depth=1
	s_or_b32 exec_lo, exec_lo, s7
	s_and_saveexec_b32 s6, s3
	s_cbranch_execnz .LBB63_64
.LBB63_48:                              ;   in Loop: Header=BB63_3 Depth=1
	s_or_b32 exec_lo, exec_lo, s6
	s_and_saveexec_b32 s5, s2
	s_cbranch_execnz .LBB63_65
.LBB63_49:                              ;   in Loop: Header=BB63_3 Depth=1
	s_or_b32 exec_lo, exec_lo, s5
	s_and_saveexec_b32 s4, vcc_lo
	s_cbranch_execz .LBB63_2
	s_branch .LBB63_66
.LBB63_50:                              ;   in Loop: Header=BB63_3 Depth=1
	s_wait_loadcnt 0x0
	global_load_b32 v5, v21, s[34:35] scale_offset
	s_wait_xcnt 0x0
	s_or_b32 exec_lo, exec_lo, s17
	s_and_saveexec_b32 s54, s16
	s_cbranch_execz .LBB63_35
.LBB63_51:                              ;   in Loop: Header=BB63_3 Depth=1
	s_wait_loadcnt 0x0
	v_cmp_u_f32_e64 s18, v2, v2
	s_wait_kmcnt 0x0
	v_cmp_eq_f32_e64 s16, s48, v2
	v_cmp_gt_i32_e64 s17, s24, v18
	s_delay_alu instid0(VALU_DEP_3) | instskip(SKIP_2) | instid1(SALU_CYCLE_1)
	v_add_co_ci_u32_e64 v1, null, 0, v1, s18
	v_cmp_gt_f32_e64 s18, s48, v2
	s_and_b32 s16, s17, s16
	v_add_co_ci_u32_e64 v20, null, 0, v20, s16
	v_add_co_ci_u32_e64 v19, null, 0, v19, s18
	s_or_b32 exec_lo, exec_lo, s54
	s_and_saveexec_b32 s18, s15
	s_cbranch_execz .LBB63_36
.LBB63_52:                              ;   in Loop: Header=BB63_3 Depth=1
	s_wait_loadcnt 0x0
	v_cmp_u_f32_e64 s17, v3, v3
	s_wait_kmcnt 0x0
	v_cmp_eq_f32_e64 s15, s48, v3
	v_cmp_gt_i32_e64 s16, s24, v35
	s_delay_alu instid0(VALU_DEP_3) | instskip(SKIP_2) | instid1(SALU_CYCLE_1)
	v_add_co_ci_u32_e64 v1, null, 0, v1, s17
	v_cmp_gt_f32_e64 s17, s48, v3
	s_and_b32 s15, s16, s15
	v_add_co_ci_u32_e64 v20, null, 0, v20, s15
	v_add_co_ci_u32_e64 v19, null, 0, v19, s17
	s_or_b32 exec_lo, exec_lo, s18
	s_and_saveexec_b32 s17, s14
	s_cbranch_execz .LBB63_37
.LBB63_53:                              ;   in Loop: Header=BB63_3 Depth=1
	s_wait_loadcnt 0x0
	v_cmp_u_f32_e64 s16, v16, v16
	s_wait_kmcnt 0x0
	v_cmp_eq_f32_e64 s14, s48, v16
	v_cmp_gt_i32_e64 s15, s24, v34
	s_delay_alu instid0(VALU_DEP_3) | instskip(SKIP_2) | instid1(SALU_CYCLE_1)
	v_add_co_ci_u32_e64 v1, null, 0, v1, s16
	v_cmp_gt_f32_e64 s16, s48, v16
	s_and_b32 s14, s15, s14
	v_add_co_ci_u32_e64 v20, null, 0, v20, s14
	v_add_co_ci_u32_e64 v19, null, 0, v19, s16
	s_or_b32 exec_lo, exec_lo, s17
	s_and_saveexec_b32 s16, s13
	s_cbranch_execz .LBB63_38
.LBB63_54:                              ;   in Loop: Header=BB63_3 Depth=1
	s_wait_loadcnt 0x0
	v_cmp_u_f32_e64 s15, v17, v17
	s_wait_kmcnt 0x0
	v_cmp_eq_f32_e64 s13, s48, v17
	v_cmp_gt_i32_e64 s14, s24, v33
	s_delay_alu instid0(VALU_DEP_3) | instskip(SKIP_2) | instid1(SALU_CYCLE_1)
	v_add_co_ci_u32_e64 v1, null, 0, v1, s15
	v_cmp_gt_f32_e64 s15, s48, v17
	s_and_b32 s13, s14, s13
	v_add_co_ci_u32_e64 v20, null, 0, v20, s13
	v_add_co_ci_u32_e64 v19, null, 0, v19, s15
	s_or_b32 exec_lo, exec_lo, s16
	s_and_saveexec_b32 s15, s12
	s_cbranch_execz .LBB63_39
.LBB63_55:                              ;   in Loop: Header=BB63_3 Depth=1
	s_wait_loadcnt 0x0
	v_cmp_u_f32_e64 s14, v14, v14
	s_wait_kmcnt 0x0
	v_cmp_eq_f32_e64 s12, s48, v14
	v_cmp_gt_i32_e64 s13, s24, v32
	s_delay_alu instid0(VALU_DEP_3) | instskip(SKIP_2) | instid1(SALU_CYCLE_1)
	v_add_co_ci_u32_e64 v1, null, 0, v1, s14
	v_cmp_gt_f32_e64 s14, s48, v14
	s_and_b32 s12, s13, s12
	v_add_co_ci_u32_e64 v20, null, 0, v20, s12
	v_add_co_ci_u32_e64 v19, null, 0, v19, s14
	s_or_b32 exec_lo, exec_lo, s15
	s_and_saveexec_b32 s14, s11
	s_cbranch_execz .LBB63_40
.LBB63_56:                              ;   in Loop: Header=BB63_3 Depth=1
	s_wait_loadcnt 0x0
	v_cmp_u_f32_e64 s13, v15, v15
	s_wait_kmcnt 0x0
	v_cmp_eq_f32_e64 s11, s48, v15
	v_cmp_gt_i32_e64 s12, s24, v31
	s_delay_alu instid0(VALU_DEP_3) | instskip(SKIP_2) | instid1(SALU_CYCLE_1)
	v_add_co_ci_u32_e64 v1, null, 0, v1, s13
	v_cmp_gt_f32_e64 s13, s48, v15
	s_and_b32 s11, s12, s11
	v_add_co_ci_u32_e64 v20, null, 0, v20, s11
	v_add_co_ci_u32_e64 v19, null, 0, v19, s13
	s_or_b32 exec_lo, exec_lo, s14
	s_and_saveexec_b32 s13, s10
	s_cbranch_execz .LBB63_41
.LBB63_57:                              ;   in Loop: Header=BB63_3 Depth=1
	s_wait_loadcnt 0x0
	v_cmp_u_f32_e64 s12, v12, v12
	s_wait_kmcnt 0x0
	v_cmp_eq_f32_e64 s10, s48, v12
	v_cmp_gt_i32_e64 s11, s24, v30
	s_delay_alu instid0(VALU_DEP_3) | instskip(SKIP_2) | instid1(SALU_CYCLE_1)
	v_add_co_ci_u32_e64 v1, null, 0, v1, s12
	v_cmp_gt_f32_e64 s12, s48, v12
	s_and_b32 s10, s11, s10
	v_add_co_ci_u32_e64 v20, null, 0, v20, s10
	v_add_co_ci_u32_e64 v19, null, 0, v19, s12
	s_or_b32 exec_lo, exec_lo, s13
	s_and_saveexec_b32 s12, s9
	s_cbranch_execz .LBB63_42
.LBB63_58:                              ;   in Loop: Header=BB63_3 Depth=1
	s_wait_loadcnt 0x0
	v_cmp_u_f32_e64 s11, v13, v13
	s_wait_kmcnt 0x0
	v_cmp_eq_f32_e64 s9, s48, v13
	v_cmp_gt_i32_e64 s10, s24, v29
	s_delay_alu instid0(VALU_DEP_3) | instskip(SKIP_2) | instid1(SALU_CYCLE_1)
	v_add_co_ci_u32_e64 v1, null, 0, v1, s11
	v_cmp_gt_f32_e64 s11, s48, v13
	s_and_b32 s9, s10, s9
	v_add_co_ci_u32_e64 v20, null, 0, v20, s9
	v_add_co_ci_u32_e64 v19, null, 0, v19, s11
	s_or_b32 exec_lo, exec_lo, s12
	s_and_saveexec_b32 s11, s8
	s_cbranch_execz .LBB63_43
.LBB63_59:                              ;   in Loop: Header=BB63_3 Depth=1
	s_wait_loadcnt 0x0
	v_cmp_u_f32_e64 s10, v10, v10
	s_wait_kmcnt 0x0
	v_cmp_eq_f32_e64 s8, s48, v10
	v_cmp_gt_i32_e64 s9, s24, v28
	s_delay_alu instid0(VALU_DEP_3) | instskip(SKIP_2) | instid1(SALU_CYCLE_1)
	v_add_co_ci_u32_e64 v1, null, 0, v1, s10
	v_cmp_gt_f32_e64 s10, s48, v10
	s_and_b32 s8, s9, s8
	v_add_co_ci_u32_e64 v20, null, 0, v20, s8
	v_add_co_ci_u32_e64 v19, null, 0, v19, s10
	s_or_b32 exec_lo, exec_lo, s11
	s_and_saveexec_b32 s10, s7
	s_cbranch_execz .LBB63_44
.LBB63_60:                              ;   in Loop: Header=BB63_3 Depth=1
	s_wait_loadcnt 0x0
	v_cmp_u_f32_e64 s9, v11, v11
	s_wait_kmcnt 0x0
	v_cmp_eq_f32_e64 s7, s48, v11
	v_cmp_gt_i32_e64 s8, s24, v27
	s_delay_alu instid0(VALU_DEP_3) | instskip(SKIP_2) | instid1(SALU_CYCLE_1)
	v_add_co_ci_u32_e64 v1, null, 0, v1, s9
	v_cmp_gt_f32_e64 s9, s48, v11
	s_and_b32 s7, s8, s7
	v_add_co_ci_u32_e64 v20, null, 0, v20, s7
	v_add_co_ci_u32_e64 v19, null, 0, v19, s9
	s_or_b32 exec_lo, exec_lo, s10
	s_and_saveexec_b32 s9, s6
	s_cbranch_execz .LBB63_45
.LBB63_61:                              ;   in Loop: Header=BB63_3 Depth=1
	s_wait_loadcnt 0x0
	v_cmp_u_f32_e64 s8, v8, v8
	s_wait_kmcnt 0x0
	v_cmp_eq_f32_e64 s6, s48, v8
	v_cmp_gt_i32_e64 s7, s24, v26
	s_delay_alu instid0(VALU_DEP_3) | instskip(SKIP_2) | instid1(SALU_CYCLE_1)
	v_add_co_ci_u32_e64 v1, null, 0, v1, s8
	v_cmp_gt_f32_e64 s8, s48, v8
	s_and_b32 s6, s7, s6
	v_add_co_ci_u32_e64 v20, null, 0, v20, s6
	v_add_co_ci_u32_e64 v19, null, 0, v19, s8
	s_or_b32 exec_lo, exec_lo, s9
	s_and_saveexec_b32 s8, s5
	s_cbranch_execz .LBB63_46
.LBB63_62:                              ;   in Loop: Header=BB63_3 Depth=1
	s_wait_loadcnt 0x0
	v_cmp_u_f32_e64 s7, v9, v9
	s_wait_kmcnt 0x0
	v_cmp_eq_f32_e64 s5, s48, v9
	v_cmp_gt_i32_e64 s6, s24, v25
	s_delay_alu instid0(VALU_DEP_3) | instskip(SKIP_2) | instid1(SALU_CYCLE_1)
	v_add_co_ci_u32_e64 v1, null, 0, v1, s7
	v_cmp_gt_f32_e64 s7, s48, v9
	s_and_b32 s5, s6, s5
	v_add_co_ci_u32_e64 v20, null, 0, v20, s5
	v_add_co_ci_u32_e64 v19, null, 0, v19, s7
	s_or_b32 exec_lo, exec_lo, s8
	s_and_saveexec_b32 s7, s4
	s_cbranch_execz .LBB63_47
.LBB63_63:                              ;   in Loop: Header=BB63_3 Depth=1
	s_wait_loadcnt 0x0
	v_cmp_u_f32_e64 s6, v6, v6
	s_wait_kmcnt 0x0
	v_cmp_eq_f32_e64 s4, s48, v6
	v_cmp_gt_i32_e64 s5, s24, v24
	s_delay_alu instid0(VALU_DEP_3) | instskip(SKIP_2) | instid1(SALU_CYCLE_1)
	v_add_co_ci_u32_e64 v1, null, 0, v1, s6
	v_cmp_gt_f32_e64 s6, s48, v6
	s_and_b32 s4, s5, s4
	v_add_co_ci_u32_e64 v20, null, 0, v20, s4
	v_add_co_ci_u32_e64 v19, null, 0, v19, s6
	s_or_b32 exec_lo, exec_lo, s7
	s_and_saveexec_b32 s6, s3
	s_cbranch_execz .LBB63_48
.LBB63_64:                              ;   in Loop: Header=BB63_3 Depth=1
	s_wait_loadcnt 0x0
	v_cmp_u_f32_e64 s5, v7, v7
	s_wait_kmcnt 0x0
	v_cmp_eq_f32_e64 s3, s48, v7
	v_cmp_gt_i32_e64 s4, s24, v23
	s_delay_alu instid0(VALU_DEP_3) | instskip(SKIP_2) | instid1(SALU_CYCLE_1)
	v_add_co_ci_u32_e64 v1, null, 0, v1, s5
	v_cmp_gt_f32_e64 s5, s48, v7
	s_and_b32 s3, s4, s3
	v_add_co_ci_u32_e64 v20, null, 0, v20, s3
	v_add_co_ci_u32_e64 v19, null, 0, v19, s5
	s_or_b32 exec_lo, exec_lo, s6
	s_and_saveexec_b32 s5, s2
	s_cbranch_execz .LBB63_49
.LBB63_65:                              ;   in Loop: Header=BB63_3 Depth=1
	s_wait_loadcnt 0x0
	v_cmp_u_f32_e64 s4, v4, v4
	s_wait_kmcnt 0x0
	v_cmp_eq_f32_e64 s2, s48, v4
	v_cmp_gt_i32_e64 s3, s24, v22
	s_delay_alu instid0(VALU_DEP_3) | instskip(SKIP_2) | instid1(SALU_CYCLE_1)
	v_add_co_ci_u32_e64 v1, null, 0, v1, s4
	v_cmp_gt_f32_e64 s4, s48, v4
	s_and_b32 s2, s3, s2
	v_add_co_ci_u32_e64 v20, null, 0, v20, s2
	v_add_co_ci_u32_e64 v19, null, 0, v19, s4
	s_or_b32 exec_lo, exec_lo, s5
	s_and_saveexec_b32 s4, vcc_lo
	s_cbranch_execz .LBB63_2
.LBB63_66:                              ;   in Loop: Header=BB63_3 Depth=1
	s_wait_loadcnt 0x0
	v_cmp_u_f32_e64 s3, v5, v5
	s_wait_kmcnt 0x0
	v_cmp_eq_f32_e32 vcc_lo, s48, v5
	v_cmp_gt_i32_e64 s2, s24, v21
	s_delay_alu instid0(VALU_DEP_3) | instskip(SKIP_2) | instid1(SALU_CYCLE_1)
	v_add_co_ci_u32_e64 v1, null, 0, v1, s3
	v_cmp_gt_f32_e64 s3, s48, v5
	s_and_b32 vcc_lo, s2, vcc_lo
	v_add_co_ci_u32_e64 v20, null, 0, v20, vcc_lo
	v_add_co_ci_u32_e64 v19, null, 0, v19, s3
	s_branch .LBB63_2
.LBB63_67:
	v_mov_b32_e32 v18, 0
                                        ; implicit-def: $vgpr2_vgpr3
                                        ; implicit-def: $vgpr16_vgpr17
                                        ; implicit-def: $vgpr14_vgpr15
                                        ; implicit-def: $vgpr12_vgpr13
                                        ; implicit-def: $vgpr10_vgpr11
                                        ; implicit-def: $vgpr8_vgpr9
                                        ; implicit-def: $vgpr6_vgpr7
                                        ; implicit-def: $vgpr4_vgpr5
	v_lshlrev_b32_e32 v1, 2, v0
	s_cmp_lt_u32 s33, 2
	ds_store_b32 v1, v18
	s_cbranch_scc0 .LBB63_69
	s_branch .LBB63_73
.LBB63_68:
	v_add_nc_u32_e32 v18, v19, v20
	v_cmp_eq_u32_e64 s2, 0, v1
	v_lshlrev_b32_e32 v1, 2, v0
	s_cmp_lt_u32 s33, 2
	ds_store_b32 v1, v18
	s_cbranch_scc1 .LBB63_73
.LBB63_69:
	s_mov_b32 s3, s33
	s_branch .LBB63_71
.LBB63_70:                              ;   in Loop: Header=BB63_71 Depth=1
	s_or_b32 exec_lo, exec_lo, s5
	s_cmp_lt_u32 s3, 4
	s_mov_b32 s3, s4
	s_cbranch_scc1 .LBB63_73
.LBB63_71:                              ; =>This Inner Loop Header: Depth=1
	s_lshr_b32 s4, s3, 1
	s_mov_b32 s5, exec_lo
	s_wait_loadcnt_dscnt 0x0
	s_barrier_signal -1
	s_barrier_wait -1
	v_cmpx_gt_u32_e64 s4, v0
	s_cbranch_execz .LBB63_70
; %bb.72:                               ;   in Loop: Header=BB63_71 Depth=1
	v_lshl_add_u32 v19, s4, 2, v1
	ds_load_b32 v19, v19
	s_wait_dscnt 0x0
	v_add_nc_u32_e32 v18, v19, v18
	ds_store_b32 v1, v18
	s_branch .LBB63_70
.LBB63_73:
	v_mov_b32_e32 v1, 0
	s_wait_loadcnt_dscnt 0x0
	s_barrier_signal -1
	s_barrier_wait -1
	ds_load_b32 v1, v1
	s_mul_u64 s[4:5], s[22:23], s[26:27]
	s_delay_alu instid0(SALU_CYCLE_1)
	s_lshl_b64 s[6:7], s[4:5], 2
	s_xor_b32 s4, s2, -1
	s_add_nc_u64 s[2:3], s[20:21], s[6:7]
	s_mov_b32 s5, exec_lo
	v_cmpx_eq_u32_e32 0, v0
	s_cbranch_execnz .LBB63_76
; %bb.74:
	s_or_b32 exec_lo, exec_lo, s5
	s_and_saveexec_b32 s5, s4
	s_cbranch_execnz .LBB63_77
.LBB63_75:
	s_or_b32 exec_lo, exec_lo, s5
	s_delay_alu instid0(SALU_CYCLE_1)
	s_and_not1_b32 vcc_lo, exec_lo, s49
	s_cbranch_vccz .LBB63_78
	s_branch .LBB63_144
.LBB63_76:
	s_wait_kmcnt 0x0
	v_mov_b32_e32 v18, s48
	s_wait_dscnt 0x0
	global_store_b32 v1, v18, s[2:3] scale_offset
	s_wait_xcnt 0x0
	s_or_b32 exec_lo, exec_lo, s5
	s_and_saveexec_b32 s5, s4
	s_cbranch_execz .LBB63_75
.LBB63_77:
	v_dual_mov_b32 v18, 0 :: v_dual_mov_b32 v19, 0x7fc00000
	s_add_nc_u64 s[2:3], s[2:3], s[30:31]
	global_store_b32 v18, v19, s[2:3]
	s_wait_xcnt 0x0
	s_or_b32 exec_lo, exec_lo, s5
	s_delay_alu instid0(SALU_CYCLE_1)
	s_and_not1_b32 vcc_lo, exec_lo, s49
	s_cbranch_vccnz .LBB63_144
.LBB63_78:
	s_clause 0x1
	s_load_b256 s[4:11], s[0:1], 0x38
	s_load_b64 s[2:3], s[0:1], 0x30
	s_add_co_i32 s15, s47, 1
	s_lshl_b32 s18, s33, 1
	s_lshl_b32 s20, s33, 2
	;; [unrolled: 1-line block ×3, first 2 shown]
                                        ; implicit-def: $vgpr20_vgpr21
                                        ; implicit-def: $vgpr22_vgpr23
                                        ; implicit-def: $vgpr24_vgpr25
                                        ; implicit-def: $vgpr26_vgpr27
                                        ; implicit-def: $vgpr28_vgpr29
                                        ; implicit-def: $vgpr30_vgpr31
                                        ; implicit-def: $vgpr32_vgpr33
                                        ; implicit-def: $vgpr34_vgpr35
	s_wait_dscnt 0x0
	s_wait_kmcnt 0x0
	v_mul_lo_u32 v18, v1, s9
	s_mul_u64 s[0:1], s[4:5], s[26:27]
	s_ashr_i32 s5, s2, 31
	s_lshl_b64 s[0:1], s[0:1], 3
	s_mov_b32 s4, s2
	s_add_nc_u64 s[0:1], s[28:29], s[0:1]
	s_lshl_b64 s[4:5], s[4:5], 3
	s_mul_u64 s[10:11], s[10:11], s[26:27]
	s_add_nc_u64 s[0:1], s[0:1], s[4:5]
	s_ashr_i32 s5, s8, 31
	s_mov_b32 s4, s8
	v_ashrrev_i32_e32 v19, 31, v18
	s_lshl_b64 s[8:9], s[10:11], 3
	s_lshl_b64 s[4:5], s[4:5], 3
	s_add_nc_u64 s[6:7], s[6:7], s[8:9]
	s_mul_i32 s2, s3, s24
	v_lshlrev_b64_e32 v[18:19], 3, v[18:19]
	s_add_nc_u64 s[4:5], s[6:7], s[4:5]
	s_ashr_i32 s3, s2, 31
	s_delay_alu instid0(SALU_CYCLE_1) | instskip(NEXT) | instid1(SALU_CYCLE_1)
	s_lshl_b64 s[2:3], s[2:3], 3
	s_add_nc_u64 s[16:17], s[0:1], s[2:3]
	s_delay_alu instid0(VALU_DEP_1)
	v_add_nc_u64_e32 v[18:19], s[4:5], v[18:19]
	s_branch .LBB63_80
.LBB63_79:                              ;   in Loop: Header=BB63_80 Depth=1
	s_wait_xcnt 0x0
	s_or_b32 exec_lo, exec_lo, s0
	v_add_nc_u32_e32 v0, s37, v0
	s_add_co_i32 s15, s15, -1
	s_delay_alu instid0(SALU_CYCLE_1)
	s_cmp_eq_u32 s15, 0
	s_cbranch_scc1 .LBB63_144
.LBB63_80:                              ; =>This Inner Loop Header: Depth=1
	s_delay_alu instid0(VALU_DEP_1)
	v_cmp_gt_i32_e32 vcc_lo, s36, v0
	s_and_saveexec_b32 s0, vcc_lo
	s_cbranch_execz .LBB63_82
; %bb.81:                               ;   in Loop: Header=BB63_80 Depth=1
	s_wait_loadcnt 0x0
	global_load_b64 v[2:3], v0, s[16:17] scale_offset
.LBB63_82:                              ;   in Loop: Header=BB63_80 Depth=1
	s_wait_xcnt 0x0
	s_or_b32 exec_lo, exec_lo, s0
	v_add_nc_u32_e32 v1, s33, v0
	s_delay_alu instid0(VALU_DEP_1)
	v_cmp_gt_i32_e64 s0, s36, v1
	s_and_saveexec_b32 s1, s0
	s_cbranch_execz .LBB63_84
; %bb.83:                               ;   in Loop: Header=BB63_80 Depth=1
	s_wait_loadcnt 0x0
	global_load_b64 v[16:17], v1, s[16:17] scale_offset
.LBB63_84:                              ;   in Loop: Header=BB63_80 Depth=1
	s_wait_xcnt 0x0
	s_or_b32 exec_lo, exec_lo, s1
	v_dual_add_nc_u32 v37, s33, v1 :: v_dual_add_nc_u32 v36, s18, v0
	s_delay_alu instid0(VALU_DEP_1)
	v_cmp_gt_i32_e64 s1, s36, v37
	s_and_saveexec_b32 s2, s1
	s_cbranch_execz .LBB63_86
; %bb.85:                               ;   in Loop: Header=BB63_80 Depth=1
	s_wait_loadcnt 0x0
	global_load_b64 v[14:15], v36, s[16:17] scale_offset
.LBB63_86:                              ;   in Loop: Header=BB63_80 Depth=1
	s_wait_xcnt 0x0
	s_or_b32 exec_lo, exec_lo, s2
	v_dual_add_nc_u32 v38, s33, v37 :: v_dual_add_nc_u32 v37, s19, v0
	;; [unrolled: 11-line block ×4, first 2 shown]
	s_delay_alu instid0(VALU_DEP_1)
	v_cmp_gt_i32_e64 s4, s36, v40
	s_and_saveexec_b32 s5, s4
	s_cbranch_execz .LBB63_92
; %bb.91:                               ;   in Loop: Header=BB63_80 Depth=1
	s_wait_loadcnt 0x0
	global_load_b64 v[8:9], v39, s[16:17] scale_offset
.LBB63_92:                              ;   in Loop: Header=BB63_80 Depth=1
	s_wait_xcnt 0x0
	s_or_b32 exec_lo, exec_lo, s5
	v_add_nc_u32_e32 v41, s33, v40
	v_add_nc_u32_e32 v40, s38, v0
	s_delay_alu instid0(VALU_DEP_2)
	v_cmp_gt_i32_e64 s5, s36, v41
	s_and_saveexec_b32 s6, s5
	s_cbranch_execz .LBB63_94
; %bb.93:                               ;   in Loop: Header=BB63_80 Depth=1
	s_wait_loadcnt 0x0
	global_load_b64 v[6:7], v40, s[16:17] scale_offset
.LBB63_94:                              ;   in Loop: Header=BB63_80 Depth=1
	s_wait_xcnt 0x0
	s_or_b32 exec_lo, exec_lo, s6
	v_dual_add_nc_u32 v42, s33, v41 :: v_dual_add_nc_u32 v41, s39, v0
	s_delay_alu instid0(VALU_DEP_1)
	v_cmp_gt_i32_e64 s6, s36, v42
	s_and_saveexec_b32 s7, s6
	s_cbranch_execz .LBB63_96
; %bb.95:                               ;   in Loop: Header=BB63_80 Depth=1
	s_wait_loadcnt 0x0
	global_load_b64 v[4:5], v41, s[16:17] scale_offset
.LBB63_96:                              ;   in Loop: Header=BB63_80 Depth=1
	s_wait_xcnt 0x0
	s_or_b32 exec_lo, exec_lo, s7
	v_dual_add_nc_u32 v43, s33, v42 :: v_dual_add_nc_u32 v42, s21, v0
	s_delay_alu instid0(VALU_DEP_1)
	v_cmp_gt_i32_e64 s7, s36, v43
	s_and_saveexec_b32 s8, s7
	s_cbranch_execz .LBB63_98
; %bb.97:                               ;   in Loop: Header=BB63_80 Depth=1
	s_wait_loadcnt 0x0
	global_load_b64 v[34:35], v42, s[16:17] scale_offset
.LBB63_98:                              ;   in Loop: Header=BB63_80 Depth=1
	s_wait_xcnt 0x0
	s_or_b32 exec_lo, exec_lo, s8
	v_dual_add_nc_u32 v44, s33, v43 :: v_dual_add_nc_u32 v43, s40, v0
	s_delay_alu instid0(VALU_DEP_1)
	v_cmp_gt_i32_e64 s8, s36, v44
	s_and_saveexec_b32 s9, s8
	s_cbranch_execz .LBB63_100
; %bb.99:                               ;   in Loop: Header=BB63_80 Depth=1
	s_wait_loadcnt 0x0
	global_load_b64 v[32:33], v43, s[16:17] scale_offset
.LBB63_100:                             ;   in Loop: Header=BB63_80 Depth=1
	s_wait_xcnt 0x0
	s_or_b32 exec_lo, exec_lo, s9
	v_add_nc_u32_e32 v45, s33, v44
	v_add_nc_u32_e32 v44, s41, v0
	s_delay_alu instid0(VALU_DEP_2)
	v_cmp_gt_i32_e64 s9, s36, v45
	s_and_saveexec_b32 s10, s9
	s_cbranch_execz .LBB63_102
; %bb.101:                              ;   in Loop: Header=BB63_80 Depth=1
	s_wait_loadcnt 0x0
	global_load_b64 v[30:31], v44, s[16:17] scale_offset
.LBB63_102:                             ;   in Loop: Header=BB63_80 Depth=1
	s_wait_xcnt 0x0
	s_or_b32 exec_lo, exec_lo, s10
	v_dual_add_nc_u32 v46, s33, v45 :: v_dual_add_nc_u32 v45, s42, v0
	s_delay_alu instid0(VALU_DEP_1)
	v_cmp_gt_i32_e64 s10, s36, v46
	s_and_saveexec_b32 s11, s10
	s_cbranch_execz .LBB63_104
; %bb.103:                              ;   in Loop: Header=BB63_80 Depth=1
	s_wait_loadcnt 0x0
	global_load_b64 v[28:29], v45, s[16:17] scale_offset
.LBB63_104:                             ;   in Loop: Header=BB63_80 Depth=1
	s_wait_xcnt 0x0
	s_or_b32 exec_lo, exec_lo, s11
	v_dual_add_nc_u32 v47, s33, v46 :: v_dual_add_nc_u32 v46, s43, v0
	s_delay_alu instid0(VALU_DEP_1)
	;; [unrolled: 11-line block ×3, first 2 shown]
	v_cmp_gt_i32_e64 s12, s36, v48
	s_and_saveexec_b32 s13, s12
	s_cbranch_execz .LBB63_108
; %bb.107:                              ;   in Loop: Header=BB63_80 Depth=1
	s_wait_loadcnt 0x0
	global_load_b64 v[24:25], v47, s[16:17] scale_offset
.LBB63_108:                             ;   in Loop: Header=BB63_80 Depth=1
	s_wait_xcnt 0x0
	s_or_b32 exec_lo, exec_lo, s13
	v_add_nc_u32_e32 v49, s33, v48
	v_add_nc_u32_e32 v48, s45, v0
	s_delay_alu instid0(VALU_DEP_2)
	v_cmp_gt_i32_e64 s13, s36, v49
	s_and_saveexec_b32 s14, s13
	s_cbranch_execz .LBB63_110
; %bb.109:                              ;   in Loop: Header=BB63_80 Depth=1
	s_wait_loadcnt 0x0
	global_load_b64 v[22:23], v48, s[16:17] scale_offset
.LBB63_110:                             ;   in Loop: Header=BB63_80 Depth=1
	s_wait_xcnt 0x0
	s_or_b32 exec_lo, exec_lo, s14
	v_dual_add_nc_u32 v50, s33, v49 :: v_dual_add_nc_u32 v49, s46, v0
	s_delay_alu instid0(VALU_DEP_1)
	v_cmp_gt_i32_e64 s14, s36, v50
	s_and_saveexec_b32 s22, s14
	s_cbranch_execnz .LBB63_127
; %bb.111:                              ;   in Loop: Header=BB63_80 Depth=1
	s_or_b32 exec_lo, exec_lo, s22
	s_and_saveexec_b32 s22, vcc_lo
	s_cbranch_execnz .LBB63_128
.LBB63_112:                             ;   in Loop: Header=BB63_80 Depth=1
	s_or_b32 exec_lo, exec_lo, s22
	s_and_saveexec_b32 s22, s0
	s_cbranch_execnz .LBB63_129
.LBB63_113:                             ;   in Loop: Header=BB63_80 Depth=1
	s_or_b32 exec_lo, exec_lo, s22
	s_and_saveexec_b32 s0, s1
	s_cbranch_execnz .LBB63_130
.LBB63_114:                             ;   in Loop: Header=BB63_80 Depth=1
	s_or_b32 exec_lo, exec_lo, s0
	s_and_saveexec_b32 s0, s2
	s_cbranch_execnz .LBB63_131
.LBB63_115:                             ;   in Loop: Header=BB63_80 Depth=1
	s_or_b32 exec_lo, exec_lo, s0
	s_and_saveexec_b32 s0, s3
	s_cbranch_execnz .LBB63_132
.LBB63_116:                             ;   in Loop: Header=BB63_80 Depth=1
	s_or_b32 exec_lo, exec_lo, s0
	s_and_saveexec_b32 s0, s4
	s_cbranch_execnz .LBB63_133
.LBB63_117:                             ;   in Loop: Header=BB63_80 Depth=1
	s_or_b32 exec_lo, exec_lo, s0
	s_and_saveexec_b32 s0, s5
	s_cbranch_execnz .LBB63_134
.LBB63_118:                             ;   in Loop: Header=BB63_80 Depth=1
	s_or_b32 exec_lo, exec_lo, s0
	s_and_saveexec_b32 s0, s6
	s_cbranch_execnz .LBB63_135
.LBB63_119:                             ;   in Loop: Header=BB63_80 Depth=1
	s_or_b32 exec_lo, exec_lo, s0
	s_and_saveexec_b32 s0, s7
	s_cbranch_execnz .LBB63_136
.LBB63_120:                             ;   in Loop: Header=BB63_80 Depth=1
	s_or_b32 exec_lo, exec_lo, s0
	s_and_saveexec_b32 s0, s8
	s_cbranch_execnz .LBB63_137
.LBB63_121:                             ;   in Loop: Header=BB63_80 Depth=1
	s_or_b32 exec_lo, exec_lo, s0
	s_and_saveexec_b32 s0, s9
	s_cbranch_execnz .LBB63_138
.LBB63_122:                             ;   in Loop: Header=BB63_80 Depth=1
	s_or_b32 exec_lo, exec_lo, s0
	s_and_saveexec_b32 s0, s10
	s_cbranch_execnz .LBB63_139
.LBB63_123:                             ;   in Loop: Header=BB63_80 Depth=1
	s_or_b32 exec_lo, exec_lo, s0
	s_and_saveexec_b32 s0, s11
	s_cbranch_execnz .LBB63_140
.LBB63_124:                             ;   in Loop: Header=BB63_80 Depth=1
	s_or_b32 exec_lo, exec_lo, s0
	s_and_saveexec_b32 s0, s12
	s_cbranch_execnz .LBB63_141
.LBB63_125:                             ;   in Loop: Header=BB63_80 Depth=1
	s_or_b32 exec_lo, exec_lo, s0
	s_and_saveexec_b32 s0, s13
	s_cbranch_execnz .LBB63_142
.LBB63_126:                             ;   in Loop: Header=BB63_80 Depth=1
	s_or_b32 exec_lo, exec_lo, s0
	s_and_saveexec_b32 s0, s14
	s_cbranch_execz .LBB63_79
	s_branch .LBB63_143
.LBB63_127:                             ;   in Loop: Header=BB63_80 Depth=1
	s_wait_loadcnt 0x0
	global_load_b64 v[20:21], v49, s[16:17] scale_offset
	s_wait_xcnt 0x0
	s_or_b32 exec_lo, exec_lo, s22
	s_and_saveexec_b32 s22, vcc_lo
	s_cbranch_execz .LBB63_112
.LBB63_128:                             ;   in Loop: Header=BB63_80 Depth=1
	v_readfirstlane_b32 s26, v18
	v_readfirstlane_b32 s27, v19
	s_wait_loadcnt 0x0
	global_store_b64 v0, v[2:3], s[26:27] scale_offset
	s_wait_xcnt 0x0
	s_or_b32 exec_lo, exec_lo, s22
	s_and_saveexec_b32 s22, s0
	s_cbranch_execz .LBB63_113
.LBB63_129:                             ;   in Loop: Header=BB63_80 Depth=1
	v_readfirstlane_b32 s26, v18
	v_readfirstlane_b32 s27, v19
	s_wait_loadcnt 0x0
	global_store_b64 v1, v[16:17], s[26:27] scale_offset
	s_wait_xcnt 0x0
	s_or_b32 exec_lo, exec_lo, s22
	s_and_saveexec_b32 s0, s1
	s_cbranch_execz .LBB63_114
.LBB63_130:                             ;   in Loop: Header=BB63_80 Depth=1
	v_readfirstlane_b32 s22, v18
	v_readfirstlane_b32 s23, v19
	s_wait_loadcnt 0x0
	global_store_b64 v36, v[14:15], s[22:23] scale_offset
	s_wait_xcnt 0x0
	s_or_b32 exec_lo, exec_lo, s0
	s_and_saveexec_b32 s0, s2
	s_cbranch_execz .LBB63_115
.LBB63_131:                             ;   in Loop: Header=BB63_80 Depth=1
	v_readfirstlane_b32 s22, v18
	v_readfirstlane_b32 s23, v19
	s_wait_loadcnt 0x0
	global_store_b64 v37, v[12:13], s[22:23] scale_offset
	s_wait_xcnt 0x0
	s_or_b32 exec_lo, exec_lo, s0
	s_and_saveexec_b32 s0, s3
	s_cbranch_execz .LBB63_116
.LBB63_132:                             ;   in Loop: Header=BB63_80 Depth=1
	v_readfirstlane_b32 s2, v18
	v_readfirstlane_b32 s3, v19
	s_wait_loadcnt 0x0
	global_store_b64 v38, v[10:11], s[2:3] scale_offset
	s_wait_xcnt 0x0
	s_or_b32 exec_lo, exec_lo, s0
	s_and_saveexec_b32 s0, s4
	s_cbranch_execz .LBB63_117
.LBB63_133:                             ;   in Loop: Header=BB63_80 Depth=1
	v_readfirstlane_b32 s2, v18
	v_readfirstlane_b32 s3, v19
	s_wait_loadcnt 0x0
	global_store_b64 v39, v[8:9], s[2:3] scale_offset
	s_wait_xcnt 0x0
	s_or_b32 exec_lo, exec_lo, s0
	s_and_saveexec_b32 s0, s5
	s_cbranch_execz .LBB63_118
.LBB63_134:                             ;   in Loop: Header=BB63_80 Depth=1
	v_readfirstlane_b32 s2, v18
	v_readfirstlane_b32 s3, v19
	s_wait_loadcnt 0x0
	global_store_b64 v40, v[6:7], s[2:3] scale_offset
	s_wait_xcnt 0x0
	s_or_b32 exec_lo, exec_lo, s0
	s_and_saveexec_b32 s0, s6
	s_cbranch_execz .LBB63_119
.LBB63_135:                             ;   in Loop: Header=BB63_80 Depth=1
	v_readfirstlane_b32 s2, v18
	v_readfirstlane_b32 s3, v19
	s_wait_loadcnt 0x0
	global_store_b64 v41, v[4:5], s[2:3] scale_offset
	s_wait_xcnt 0x0
	s_or_b32 exec_lo, exec_lo, s0
	s_and_saveexec_b32 s0, s7
	s_cbranch_execz .LBB63_120
.LBB63_136:                             ;   in Loop: Header=BB63_80 Depth=1
	v_readfirstlane_b32 s2, v18
	v_readfirstlane_b32 s3, v19
	s_wait_loadcnt 0x0
	global_store_b64 v42, v[34:35], s[2:3] scale_offset
	s_wait_xcnt 0x0
	s_or_b32 exec_lo, exec_lo, s0
	s_and_saveexec_b32 s0, s8
	s_cbranch_execz .LBB63_121
.LBB63_137:                             ;   in Loop: Header=BB63_80 Depth=1
	v_readfirstlane_b32 s2, v18
	v_readfirstlane_b32 s3, v19
	s_wait_loadcnt 0x0
	global_store_b64 v43, v[32:33], s[2:3] scale_offset
	s_wait_xcnt 0x0
	s_or_b32 exec_lo, exec_lo, s0
	s_and_saveexec_b32 s0, s9
	s_cbranch_execz .LBB63_122
.LBB63_138:                             ;   in Loop: Header=BB63_80 Depth=1
	v_readfirstlane_b32 s2, v18
	v_readfirstlane_b32 s3, v19
	s_wait_loadcnt 0x0
	global_store_b64 v44, v[30:31], s[2:3] scale_offset
	s_wait_xcnt 0x0
	s_or_b32 exec_lo, exec_lo, s0
	s_and_saveexec_b32 s0, s10
	s_cbranch_execz .LBB63_123
.LBB63_139:                             ;   in Loop: Header=BB63_80 Depth=1
	v_readfirstlane_b32 s2, v18
	v_readfirstlane_b32 s3, v19
	s_wait_loadcnt 0x0
	global_store_b64 v45, v[28:29], s[2:3] scale_offset
	s_wait_xcnt 0x0
	s_or_b32 exec_lo, exec_lo, s0
	s_and_saveexec_b32 s0, s11
	s_cbranch_execz .LBB63_124
.LBB63_140:                             ;   in Loop: Header=BB63_80 Depth=1
	v_readfirstlane_b32 s2, v18
	v_readfirstlane_b32 s3, v19
	s_wait_loadcnt 0x0
	global_store_b64 v46, v[26:27], s[2:3] scale_offset
	s_wait_xcnt 0x0
	s_or_b32 exec_lo, exec_lo, s0
	s_and_saveexec_b32 s0, s12
	s_cbranch_execz .LBB63_125
.LBB63_141:                             ;   in Loop: Header=BB63_80 Depth=1
	v_readfirstlane_b32 s2, v18
	v_readfirstlane_b32 s3, v19
	s_wait_loadcnt 0x0
	global_store_b64 v47, v[24:25], s[2:3] scale_offset
	s_wait_xcnt 0x0
	s_or_b32 exec_lo, exec_lo, s0
	s_and_saveexec_b32 s0, s13
	s_cbranch_execz .LBB63_126
.LBB63_142:                             ;   in Loop: Header=BB63_80 Depth=1
	v_readfirstlane_b32 s2, v18
	v_readfirstlane_b32 s3, v19
	s_wait_loadcnt 0x0
	global_store_b64 v48, v[22:23], s[2:3] scale_offset
	s_wait_xcnt 0x0
	s_or_b32 exec_lo, exec_lo, s0
	s_and_saveexec_b32 s0, s14
	s_cbranch_execz .LBB63_79
.LBB63_143:                             ;   in Loop: Header=BB63_80 Depth=1
	v_readfirstlane_b32 s2, v18
	v_readfirstlane_b32 s3, v19
	s_wait_loadcnt 0x0
	global_store_b64 v49, v[20:21], s[2:3] scale_offset
	s_branch .LBB63_79
.LBB63_144:
	s_endpgm
	.section	.rodata,"a",@progbits
	.p2align	6, 0x0
	.amdhsa_kernel _ZN9rocsolver6v33100L10stedc_sortI19rocblas_complex_numIfEfPS3_S4_EEviPT0_lS6_lT1_iilT2_iil
		.amdhsa_group_segment_fixed_size 2048
		.amdhsa_private_segment_fixed_size 0
		.amdhsa_kernarg_size 344
		.amdhsa_user_sgpr_count 2
		.amdhsa_user_sgpr_dispatch_ptr 0
		.amdhsa_user_sgpr_queue_ptr 0
		.amdhsa_user_sgpr_kernarg_segment_ptr 1
		.amdhsa_user_sgpr_dispatch_id 0
		.amdhsa_user_sgpr_kernarg_preload_length 0
		.amdhsa_user_sgpr_kernarg_preload_offset 0
		.amdhsa_user_sgpr_private_segment_size 0
		.amdhsa_wavefront_size32 1
		.amdhsa_uses_dynamic_stack 0
		.amdhsa_enable_private_segment 0
		.amdhsa_system_sgpr_workgroup_id_x 1
		.amdhsa_system_sgpr_workgroup_id_y 1
		.amdhsa_system_sgpr_workgroup_id_z 0
		.amdhsa_system_sgpr_workgroup_info 0
		.amdhsa_system_vgpr_workitem_id 0
		.amdhsa_next_free_vgpr 51
		.amdhsa_next_free_sgpr 55
		.amdhsa_named_barrier_count 0
		.amdhsa_reserve_vcc 1
		.amdhsa_float_round_mode_32 0
		.amdhsa_float_round_mode_16_64 0
		.amdhsa_float_denorm_mode_32 3
		.amdhsa_float_denorm_mode_16_64 3
		.amdhsa_fp16_overflow 0
		.amdhsa_memory_ordered 1
		.amdhsa_forward_progress 1
		.amdhsa_inst_pref_size 39
		.amdhsa_round_robin_scheduling 0
		.amdhsa_exception_fp_ieee_invalid_op 0
		.amdhsa_exception_fp_denorm_src 0
		.amdhsa_exception_fp_ieee_div_zero 0
		.amdhsa_exception_fp_ieee_overflow 0
		.amdhsa_exception_fp_ieee_underflow 0
		.amdhsa_exception_fp_ieee_inexact 0
		.amdhsa_exception_int_div_zero 0
	.end_amdhsa_kernel
	.section	.text._ZN9rocsolver6v33100L10stedc_sortI19rocblas_complex_numIfEfPS3_S4_EEviPT0_lS6_lT1_iilT2_iil,"axG",@progbits,_ZN9rocsolver6v33100L10stedc_sortI19rocblas_complex_numIfEfPS3_S4_EEviPT0_lS6_lT1_iilT2_iil,comdat
.Lfunc_end63:
	.size	_ZN9rocsolver6v33100L10stedc_sortI19rocblas_complex_numIfEfPS3_S4_EEviPT0_lS6_lT1_iilT2_iil, .Lfunc_end63-_ZN9rocsolver6v33100L10stedc_sortI19rocblas_complex_numIfEfPS3_S4_EEviPT0_lS6_lT1_iilT2_iil
                                        ; -- End function
	.set _ZN9rocsolver6v33100L10stedc_sortI19rocblas_complex_numIfEfPS3_S4_EEviPT0_lS6_lT1_iilT2_iil.num_vgpr, 51
	.set _ZN9rocsolver6v33100L10stedc_sortI19rocblas_complex_numIfEfPS3_S4_EEviPT0_lS6_lT1_iilT2_iil.num_agpr, 0
	.set _ZN9rocsolver6v33100L10stedc_sortI19rocblas_complex_numIfEfPS3_S4_EEviPT0_lS6_lT1_iilT2_iil.numbered_sgpr, 55
	.set _ZN9rocsolver6v33100L10stedc_sortI19rocblas_complex_numIfEfPS3_S4_EEviPT0_lS6_lT1_iilT2_iil.num_named_barrier, 0
	.set _ZN9rocsolver6v33100L10stedc_sortI19rocblas_complex_numIfEfPS3_S4_EEviPT0_lS6_lT1_iilT2_iil.private_seg_size, 0
	.set _ZN9rocsolver6v33100L10stedc_sortI19rocblas_complex_numIfEfPS3_S4_EEviPT0_lS6_lT1_iilT2_iil.uses_vcc, 1
	.set _ZN9rocsolver6v33100L10stedc_sortI19rocblas_complex_numIfEfPS3_S4_EEviPT0_lS6_lT1_iilT2_iil.uses_flat_scratch, 0
	.set _ZN9rocsolver6v33100L10stedc_sortI19rocblas_complex_numIfEfPS3_S4_EEviPT0_lS6_lT1_iilT2_iil.has_dyn_sized_stack, 0
	.set _ZN9rocsolver6v33100L10stedc_sortI19rocblas_complex_numIfEfPS3_S4_EEviPT0_lS6_lT1_iilT2_iil.has_recursion, 0
	.set _ZN9rocsolver6v33100L10stedc_sortI19rocblas_complex_numIfEfPS3_S4_EEviPT0_lS6_lT1_iilT2_iil.has_indirect_call, 0
	.section	.AMDGPU.csdata,"",@progbits
; Kernel info:
; codeLenInByte = 4904
; TotalNumSgprs: 57
; NumVgprs: 51
; ScratchSize: 0
; MemoryBound: 0
; FloatMode: 240
; IeeeMode: 1
; LDSByteSize: 2048 bytes/workgroup (compile time only)
; SGPRBlocks: 0
; VGPRBlocks: 3
; NumSGPRsForWavesPerEU: 57
; NumVGPRsForWavesPerEU: 51
; NamedBarCnt: 0
; Occupancy: 16
; WaveLimiterHint : 0
; COMPUTE_PGM_RSRC2:SCRATCH_EN: 0
; COMPUTE_PGM_RSRC2:USER_SGPR: 2
; COMPUTE_PGM_RSRC2:TRAP_HANDLER: 0
; COMPUTE_PGM_RSRC2:TGID_X_EN: 1
; COMPUTE_PGM_RSRC2:TGID_Y_EN: 1
; COMPUTE_PGM_RSRC2:TGID_Z_EN: 0
; COMPUTE_PGM_RSRC2:TIDIG_COMP_CNT: 0
	.section	.text._ZN9rocsolver6v33100L16reset_batch_infoI19rocblas_complex_numIdEiiPS3_EEvT2_lT0_T1_,"axG",@progbits,_ZN9rocsolver6v33100L16reset_batch_infoI19rocblas_complex_numIdEiiPS3_EEvT2_lT0_T1_,comdat
	.globl	_ZN9rocsolver6v33100L16reset_batch_infoI19rocblas_complex_numIdEiiPS3_EEvT2_lT0_T1_ ; -- Begin function _ZN9rocsolver6v33100L16reset_batch_infoI19rocblas_complex_numIdEiiPS3_EEvT2_lT0_T1_
	.p2align	8
	.type	_ZN9rocsolver6v33100L16reset_batch_infoI19rocblas_complex_numIdEiiPS3_EEvT2_lT0_T1_,@function
_ZN9rocsolver6v33100L16reset_batch_infoI19rocblas_complex_numIdEiiPS3_EEvT2_lT0_T1_: ; @_ZN9rocsolver6v33100L16reset_batch_infoI19rocblas_complex_numIdEiiPS3_EEvT2_lT0_T1_
; %bb.0:
	s_clause 0x1
	s_load_b32 s5, s[0:1], 0x24
	s_load_b64 s[2:3], s[0:1], 0x10
	s_bfe_u32 s4, ttmp6, 0x4000c
	s_and_b32 s6, ttmp6, 15
	s_add_co_i32 s7, s4, 1
	s_getreg_b32 s4, hwreg(HW_REG_IB_STS2, 6, 4)
	s_mul_i32 s7, ttmp9, s7
	s_delay_alu instid0(SALU_CYCLE_1) | instskip(SKIP_4) | instid1(SALU_CYCLE_1)
	s_add_co_i32 s6, s6, s7
	s_wait_kmcnt 0x0
	s_and_b32 s5, s5, 0xffff
	s_cmp_eq_u32 s4, 0
	s_cselect_b32 s6, ttmp9, s6
	v_mad_u32 v0, s6, s5, v0
	s_delay_alu instid0(VALU_DEP_1)
	v_cmp_gt_i32_e32 vcc_lo, s2, v0
	s_and_saveexec_b32 s2, vcc_lo
	s_cbranch_execz .LBB64_2
; %bb.1:
	v_cvt_f64_i32_e32 v[2:3], s3
	s_load_b128 s[0:3], s[0:1], 0x0
	s_bfe_u32 s5, ttmp6, 0x40010
	s_bfe_u32 s6, ttmp6, 0x40004
	s_add_co_i32 s5, s5, 1
	v_mov_b32_e32 v4, 0
	s_mul_i32 s5, ttmp7, s5
	s_delay_alu instid0(SALU_CYCLE_1) | instskip(SKIP_1) | instid1(VALU_DEP_1)
	s_add_co_i32 s6, s6, s5
	s_cmp_eq_u32 s4, 0
	v_mov_b32_e32 v5, v4
	s_cselect_b32 s4, ttmp7, s6
	s_delay_alu instid0(SALU_CYCLE_1) | instskip(SKIP_2) | instid1(SALU_CYCLE_1)
	s_ashr_i32 s5, s4, 31
	s_wait_kmcnt 0x0
	s_mul_u64 s[2:3], s[2:3], s[4:5]
	s_lshl_b64 s[2:3], s[2:3], 4
	s_delay_alu instid0(SALU_CYCLE_1)
	s_add_nc_u64 s[0:1], s[0:1], s[2:3]
	global_store_b128 v0, v[2:5], s[0:1] scale_offset
.LBB64_2:
	s_endpgm
	.section	.rodata,"a",@progbits
	.p2align	6, 0x0
	.amdhsa_kernel _ZN9rocsolver6v33100L16reset_batch_infoI19rocblas_complex_numIdEiiPS3_EEvT2_lT0_T1_
		.amdhsa_group_segment_fixed_size 0
		.amdhsa_private_segment_fixed_size 0
		.amdhsa_kernarg_size 280
		.amdhsa_user_sgpr_count 2
		.amdhsa_user_sgpr_dispatch_ptr 0
		.amdhsa_user_sgpr_queue_ptr 0
		.amdhsa_user_sgpr_kernarg_segment_ptr 1
		.amdhsa_user_sgpr_dispatch_id 0
		.amdhsa_user_sgpr_kernarg_preload_length 0
		.amdhsa_user_sgpr_kernarg_preload_offset 0
		.amdhsa_user_sgpr_private_segment_size 0
		.amdhsa_wavefront_size32 1
		.amdhsa_uses_dynamic_stack 0
		.amdhsa_enable_private_segment 0
		.amdhsa_system_sgpr_workgroup_id_x 1
		.amdhsa_system_sgpr_workgroup_id_y 1
		.amdhsa_system_sgpr_workgroup_id_z 0
		.amdhsa_system_sgpr_workgroup_info 0
		.amdhsa_system_vgpr_workitem_id 0
		.amdhsa_next_free_vgpr 6
		.amdhsa_next_free_sgpr 8
		.amdhsa_named_barrier_count 0
		.amdhsa_reserve_vcc 1
		.amdhsa_float_round_mode_32 0
		.amdhsa_float_round_mode_16_64 0
		.amdhsa_float_denorm_mode_32 3
		.amdhsa_float_denorm_mode_16_64 3
		.amdhsa_fp16_overflow 0
		.amdhsa_memory_ordered 1
		.amdhsa_forward_progress 1
		.amdhsa_inst_pref_size 2
		.amdhsa_round_robin_scheduling 0
		.amdhsa_exception_fp_ieee_invalid_op 0
		.amdhsa_exception_fp_denorm_src 0
		.amdhsa_exception_fp_ieee_div_zero 0
		.amdhsa_exception_fp_ieee_overflow 0
		.amdhsa_exception_fp_ieee_underflow 0
		.amdhsa_exception_fp_ieee_inexact 0
		.amdhsa_exception_int_div_zero 0
	.end_amdhsa_kernel
	.section	.text._ZN9rocsolver6v33100L16reset_batch_infoI19rocblas_complex_numIdEiiPS3_EEvT2_lT0_T1_,"axG",@progbits,_ZN9rocsolver6v33100L16reset_batch_infoI19rocblas_complex_numIdEiiPS3_EEvT2_lT0_T1_,comdat
.Lfunc_end64:
	.size	_ZN9rocsolver6v33100L16reset_batch_infoI19rocblas_complex_numIdEiiPS3_EEvT2_lT0_T1_, .Lfunc_end64-_ZN9rocsolver6v33100L16reset_batch_infoI19rocblas_complex_numIdEiiPS3_EEvT2_lT0_T1_
                                        ; -- End function
	.set _ZN9rocsolver6v33100L16reset_batch_infoI19rocblas_complex_numIdEiiPS3_EEvT2_lT0_T1_.num_vgpr, 6
	.set _ZN9rocsolver6v33100L16reset_batch_infoI19rocblas_complex_numIdEiiPS3_EEvT2_lT0_T1_.num_agpr, 0
	.set _ZN9rocsolver6v33100L16reset_batch_infoI19rocblas_complex_numIdEiiPS3_EEvT2_lT0_T1_.numbered_sgpr, 8
	.set _ZN9rocsolver6v33100L16reset_batch_infoI19rocblas_complex_numIdEiiPS3_EEvT2_lT0_T1_.num_named_barrier, 0
	.set _ZN9rocsolver6v33100L16reset_batch_infoI19rocblas_complex_numIdEiiPS3_EEvT2_lT0_T1_.private_seg_size, 0
	.set _ZN9rocsolver6v33100L16reset_batch_infoI19rocblas_complex_numIdEiiPS3_EEvT2_lT0_T1_.uses_vcc, 1
	.set _ZN9rocsolver6v33100L16reset_batch_infoI19rocblas_complex_numIdEiiPS3_EEvT2_lT0_T1_.uses_flat_scratch, 0
	.set _ZN9rocsolver6v33100L16reset_batch_infoI19rocblas_complex_numIdEiiPS3_EEvT2_lT0_T1_.has_dyn_sized_stack, 0
	.set _ZN9rocsolver6v33100L16reset_batch_infoI19rocblas_complex_numIdEiiPS3_EEvT2_lT0_T1_.has_recursion, 0
	.set _ZN9rocsolver6v33100L16reset_batch_infoI19rocblas_complex_numIdEiiPS3_EEvT2_lT0_T1_.has_indirect_call, 0
	.section	.AMDGPU.csdata,"",@progbits
; Kernel info:
; codeLenInByte = 200
; TotalNumSgprs: 10
; NumVgprs: 6
; ScratchSize: 0
; MemoryBound: 0
; FloatMode: 240
; IeeeMode: 1
; LDSByteSize: 0 bytes/workgroup (compile time only)
; SGPRBlocks: 0
; VGPRBlocks: 0
; NumSGPRsForWavesPerEU: 10
; NumVGPRsForWavesPerEU: 6
; NamedBarCnt: 0
; Occupancy: 16
; WaveLimiterHint : 0
; COMPUTE_PGM_RSRC2:SCRATCH_EN: 0
; COMPUTE_PGM_RSRC2:USER_SGPR: 2
; COMPUTE_PGM_RSRC2:TRAP_HANDLER: 0
; COMPUTE_PGM_RSRC2:TGID_X_EN: 1
; COMPUTE_PGM_RSRC2:TGID_Y_EN: 1
; COMPUTE_PGM_RSRC2:TGID_Z_EN: 0
; COMPUTE_PGM_RSRC2:TIDIG_COMP_CNT: 0
	.section	.text._ZN9rocsolver6v33100L10init_identI19rocblas_complex_numIdEPS3_EEviiT0_iil,"axG",@progbits,_ZN9rocsolver6v33100L10init_identI19rocblas_complex_numIdEPS3_EEviiT0_iil,comdat
	.globl	_ZN9rocsolver6v33100L10init_identI19rocblas_complex_numIdEPS3_EEviiT0_iil ; -- Begin function _ZN9rocsolver6v33100L10init_identI19rocblas_complex_numIdEPS3_EEviiT0_iil
	.p2align	8
	.type	_ZN9rocsolver6v33100L10init_identI19rocblas_complex_numIdEPS3_EEviiT0_iil,@function
_ZN9rocsolver6v33100L10init_identI19rocblas_complex_numIdEPS3_EEviiT0_iil: ; @_ZN9rocsolver6v33100L10init_identI19rocblas_complex_numIdEPS3_EEviiT0_iil
; %bb.0:
	s_clause 0x1
	s_load_b32 s5, s[0:1], 0x2c
	s_load_b64 s[2:3], s[0:1], 0x0
	s_bfe_u32 s7, ttmp6, 0x40010
	s_bfe_u32 s10, ttmp6, 0x4000c
	s_and_b32 s6, ttmp7, 0xffff
	s_add_co_i32 s7, s7, 1
	s_add_co_i32 s10, s10, 1
	s_bfe_u32 s8, ttmp6, 0x40004
	s_and_b32 s9, ttmp6, 15
	s_mul_i32 s7, s6, s7
	s_mul_i32 s10, ttmp9, s10
	s_getreg_b32 s4, hwreg(HW_REG_IB_STS2, 6, 4)
	v_and_b32_e32 v1, 0x3ff, v0
	v_bfe_u32 v0, v0, 10, 10
	s_add_co_i32 s8, s8, s7
	s_add_co_i32 s9, s9, s10
	s_wait_kmcnt 0x0
	s_lshr_b32 s7, s5, 16
	s_and_b32 s5, s5, 0xffff
	s_cmp_eq_u32 s4, 0
	s_cselect_b32 s9, ttmp9, s9
	s_cselect_b32 s6, s6, s8
	v_mad_u32 v2, s9, s5, v1
	v_mad_u32 v0, s6, s7, v0
	s_delay_alu instid0(VALU_DEP_2) | instskip(NEXT) | instid1(VALU_DEP_2)
	v_cmp_gt_u32_e32 vcc_lo, s2, v2
	v_cmp_gt_u32_e64 s2, s3, v0
	s_and_b32 s2, vcc_lo, s2
	s_delay_alu instid0(SALU_CYCLE_1)
	s_and_saveexec_b32 s3, s2
	s_cbranch_execz .LBB65_6
; %bb.1:
	s_load_b64 s[2:3], s[0:1], 0x10
	s_mov_b32 s5, exec_lo
                                        ; implicit-def: $vgpr4
	v_cmpx_ne_u32_e64 v2, v0
	s_xor_b32 s5, exec_lo, s5
	s_cbranch_execz .LBB65_3
; %bb.2:
	s_wait_kmcnt 0x0
	v_mad_u32 v4, v0, s3, v2
                                        ; implicit-def: $vgpr2
.LBB65_3:
	s_or_saveexec_b32 s5, s5
	v_mov_b64_e32 v[0:1], 0
	s_xor_b32 exec_lo, exec_lo, s5
	s_cbranch_execz .LBB65_5
; %bb.4:
	s_wait_kmcnt 0x0
	v_mad_u32 v4, v2, s3, v2
	v_mov_b64_e32 v[0:1], 1.0
.LBB65_5:
	s_or_b32 exec_lo, exec_lo, s5
	s_clause 0x1
	s_load_b64 s[6:7], s[0:1], 0x18
	s_load_b64 s[8:9], s[0:1], 0x8
	s_wait_xcnt 0x0
	s_bfe_u32 s0, ttmp6, 0x40014
	s_lshr_b32 s5, ttmp7, 16
	s_add_co_i32 s0, s0, 1
	s_bfe_u32 s10, ttmp6, 0x40008
	s_mul_i32 s0, s5, s0
	s_wait_kmcnt 0x0
	s_ashr_i32 s3, s2, 31
	s_add_co_i32 s10, s10, s0
	s_cmp_eq_u32 s4, 0
	s_mov_b32 s1, 0
	v_mov_b32_e32 v2, 0
	s_cselect_b32 s0, s5, s10
	s_lshl_b64 s[2:3], s[2:3], 4
	s_delay_alu instid0(VALU_DEP_1) | instskip(SKIP_1) | instid1(SALU_CYCLE_1)
	v_mov_b32_e32 v3, v2
	s_mul_u64 s[0:1], s[6:7], s[0:1]
	s_lshl_b64 s[0:1], s[0:1], 4
	s_delay_alu instid0(SALU_CYCLE_1) | instskip(NEXT) | instid1(SALU_CYCLE_1)
	s_add_nc_u64 s[0:1], s[8:9], s[0:1]
	s_add_nc_u64 s[0:1], s[0:1], s[2:3]
	global_store_b128 v4, v[0:3], s[0:1] scale_offset
.LBB65_6:
	s_endpgm
	.section	.rodata,"a",@progbits
	.p2align	6, 0x0
	.amdhsa_kernel _ZN9rocsolver6v33100L10init_identI19rocblas_complex_numIdEPS3_EEviiT0_iil
		.amdhsa_group_segment_fixed_size 0
		.amdhsa_private_segment_fixed_size 0
		.amdhsa_kernarg_size 288
		.amdhsa_user_sgpr_count 2
		.amdhsa_user_sgpr_dispatch_ptr 0
		.amdhsa_user_sgpr_queue_ptr 0
		.amdhsa_user_sgpr_kernarg_segment_ptr 1
		.amdhsa_user_sgpr_dispatch_id 0
		.amdhsa_user_sgpr_kernarg_preload_length 0
		.amdhsa_user_sgpr_kernarg_preload_offset 0
		.amdhsa_user_sgpr_private_segment_size 0
		.amdhsa_wavefront_size32 1
		.amdhsa_uses_dynamic_stack 0
		.amdhsa_enable_private_segment 0
		.amdhsa_system_sgpr_workgroup_id_x 1
		.amdhsa_system_sgpr_workgroup_id_y 1
		.amdhsa_system_sgpr_workgroup_id_z 1
		.amdhsa_system_sgpr_workgroup_info 0
		.amdhsa_system_vgpr_workitem_id 1
		.amdhsa_next_free_vgpr 5
		.amdhsa_next_free_sgpr 11
		.amdhsa_named_barrier_count 0
		.amdhsa_reserve_vcc 1
		.amdhsa_float_round_mode_32 0
		.amdhsa_float_round_mode_16_64 0
		.amdhsa_float_denorm_mode_32 3
		.amdhsa_float_denorm_mode_16_64 3
		.amdhsa_fp16_overflow 0
		.amdhsa_memory_ordered 1
		.amdhsa_forward_progress 1
		.amdhsa_inst_pref_size 3
		.amdhsa_round_robin_scheduling 0
		.amdhsa_exception_fp_ieee_invalid_op 0
		.amdhsa_exception_fp_denorm_src 0
		.amdhsa_exception_fp_ieee_div_zero 0
		.amdhsa_exception_fp_ieee_overflow 0
		.amdhsa_exception_fp_ieee_underflow 0
		.amdhsa_exception_fp_ieee_inexact 0
		.amdhsa_exception_int_div_zero 0
	.end_amdhsa_kernel
	.section	.text._ZN9rocsolver6v33100L10init_identI19rocblas_complex_numIdEPS3_EEviiT0_iil,"axG",@progbits,_ZN9rocsolver6v33100L10init_identI19rocblas_complex_numIdEPS3_EEviiT0_iil,comdat
.Lfunc_end65:
	.size	_ZN9rocsolver6v33100L10init_identI19rocblas_complex_numIdEPS3_EEviiT0_iil, .Lfunc_end65-_ZN9rocsolver6v33100L10init_identI19rocblas_complex_numIdEPS3_EEviiT0_iil
                                        ; -- End function
	.set _ZN9rocsolver6v33100L10init_identI19rocblas_complex_numIdEPS3_EEviiT0_iil.num_vgpr, 5
	.set _ZN9rocsolver6v33100L10init_identI19rocblas_complex_numIdEPS3_EEviiT0_iil.num_agpr, 0
	.set _ZN9rocsolver6v33100L10init_identI19rocblas_complex_numIdEPS3_EEviiT0_iil.numbered_sgpr, 11
	.set _ZN9rocsolver6v33100L10init_identI19rocblas_complex_numIdEPS3_EEviiT0_iil.num_named_barrier, 0
	.set _ZN9rocsolver6v33100L10init_identI19rocblas_complex_numIdEPS3_EEviiT0_iil.private_seg_size, 0
	.set _ZN9rocsolver6v33100L10init_identI19rocblas_complex_numIdEPS3_EEviiT0_iil.uses_vcc, 1
	.set _ZN9rocsolver6v33100L10init_identI19rocblas_complex_numIdEPS3_EEviiT0_iil.uses_flat_scratch, 0
	.set _ZN9rocsolver6v33100L10init_identI19rocblas_complex_numIdEPS3_EEviiT0_iil.has_dyn_sized_stack, 0
	.set _ZN9rocsolver6v33100L10init_identI19rocblas_complex_numIdEPS3_EEviiT0_iil.has_recursion, 0
	.set _ZN9rocsolver6v33100L10init_identI19rocblas_complex_numIdEPS3_EEviiT0_iil.has_indirect_call, 0
	.section	.AMDGPU.csdata,"",@progbits
; Kernel info:
; codeLenInByte = 380
; TotalNumSgprs: 13
; NumVgprs: 5
; ScratchSize: 0
; MemoryBound: 0
; FloatMode: 240
; IeeeMode: 1
; LDSByteSize: 0 bytes/workgroup (compile time only)
; SGPRBlocks: 0
; VGPRBlocks: 0
; NumSGPRsForWavesPerEU: 13
; NumVGPRsForWavesPerEU: 5
; NamedBarCnt: 0
; Occupancy: 16
; WaveLimiterHint : 0
; COMPUTE_PGM_RSRC2:SCRATCH_EN: 0
; COMPUTE_PGM_RSRC2:USER_SGPR: 2
; COMPUTE_PGM_RSRC2:TRAP_HANDLER: 0
; COMPUTE_PGM_RSRC2:TGID_X_EN: 1
; COMPUTE_PGM_RSRC2:TGID_Y_EN: 1
; COMPUTE_PGM_RSRC2:TGID_Z_EN: 1
; COMPUTE_PGM_RSRC2:TIDIG_COMP_CNT: 1
	.section	.text._ZN9rocsolver6v33100L11lasr_kernelI19rocblas_complex_numIdEdPS3_iEEv13rocblas_side_14rocblas_pivot_15rocblas_direct_T2_S8_PT0_lSA_lT1_lS8_lS8_,"axG",@progbits,_ZN9rocsolver6v33100L11lasr_kernelI19rocblas_complex_numIdEdPS3_iEEv13rocblas_side_14rocblas_pivot_15rocblas_direct_T2_S8_PT0_lSA_lT1_lS8_lS8_,comdat
	.globl	_ZN9rocsolver6v33100L11lasr_kernelI19rocblas_complex_numIdEdPS3_iEEv13rocblas_side_14rocblas_pivot_15rocblas_direct_T2_S8_PT0_lSA_lT1_lS8_lS8_ ; -- Begin function _ZN9rocsolver6v33100L11lasr_kernelI19rocblas_complex_numIdEdPS3_iEEv13rocblas_side_14rocblas_pivot_15rocblas_direct_T2_S8_PT0_lSA_lT1_lS8_lS8_
	.p2align	8
	.type	_ZN9rocsolver6v33100L11lasr_kernelI19rocblas_complex_numIdEdPS3_iEEv13rocblas_side_14rocblas_pivot_15rocblas_direct_T2_S8_PT0_lSA_lT1_lS8_lS8_,@function
_ZN9rocsolver6v33100L11lasr_kernelI19rocblas_complex_numIdEdPS3_iEEv13rocblas_side_14rocblas_pivot_15rocblas_direct_T2_S8_PT0_lSA_lT1_lS8_lS8_: ; @_ZN9rocsolver6v33100L11lasr_kernelI19rocblas_complex_numIdEdPS3_iEEv13rocblas_side_14rocblas_pivot_15rocblas_direct_T2_S8_PT0_lSA_lT1_lS8_lS8_
; %bb.0:
	s_load_b32 s33, s[0:1], 0x58
	s_bfe_u32 s2, ttmp6, 0x40014
	s_lshr_b32 s3, ttmp7, 16
	s_add_co_i32 s2, s2, 1
	s_bfe_u32 s5, ttmp6, 0x40008
	s_mul_i32 s2, s3, s2
	s_getreg_b32 s4, hwreg(HW_REG_IB_STS2, 6, 4)
	s_add_co_i32 s5, s5, s2
	s_cmp_eq_u32 s4, 0
	s_cselect_b32 s2, s3, s5
	s_mov_b32 s3, 0
	s_wait_kmcnt 0x0
	s_cmp_ge_u32 s2, s33
	s_cbranch_scc1 .LBB66_108
; %bb.1:
	s_clause 0x3
	s_load_b32 s20, s[0:1], 0x48
	s_load_b64 s[22:23], s[0:1], 0x68
	s_load_b128 s[16:19], s[0:1], 0x38
	s_load_b128 s[12:15], s[0:1], 0x0
	s_bfe_u32 s5, ttmp6, 0x4000c
	s_and_b32 s6, ttmp6, 15
	s_add_co_i32 s5, s5, 1
	s_load_b32 s24, s[0:1], 0x60
	s_mul_i32 s5, ttmp9, s5
	s_mov_b32 s51, s3
	s_add_co_i32 s6, s6, s5
	s_wait_kmcnt 0x0
	s_ashr_i32 s21, s20, 31
	s_and_b32 s25, s23, 0xffff
	s_cmp_eq_u32 s4, 0
	s_load_b32 s23, s[0:1], 0x10
	s_cselect_b32 s26, ttmp9, s6
	s_lshl_b64 s[48:49], s[18:19], 4
	v_mad_u32 v4, s26, s25, v0
	s_cmp_eq_u32 s12, 0x8d
	s_load_b64 s[18:19], s[0:1], 0x50
	s_cselect_b32 s27, -1, 0
	s_cmp_eq_u32 s12, 0x8e
	s_load_b256 s[4:11], s[0:1], 0x18
	s_cselect_b32 s28, -1, 0
	s_cmp_eq_u32 s13, 0x119
	s_mul_i32 s12, s24, s25
	s_cselect_b32 s29, -1, 0
	s_cmp_eq_u32 s13, 0x11b
	v_ashrrev_i32_e32 v5, 31, v4
	s_wait_xcnt 0x0
	s_cselect_b32 s0, -1, 0
	s_cmp_eq_u32 s13, 0x11a
	s_add_nc_u64 s[24:25], s[16:17], s[48:49]
	s_cselect_b32 s1, -1, 0
	s_cmp_eq_u32 s14, 0xab
	v_mul_u64_e32 v[2:3], s[20:21], v[4:5]
	s_cselect_b32 s13, -1, 0
	s_cmp_eq_u32 s14, 0xac
	v_lshlrev_b64_e32 v[0:1], 4, v[4:5]
	s_cselect_b32 s26, -1, 0
	s_and_b32 s14, s27, s29
	s_and_b32 s30, s27, s1
	s_and_b32 s31, s14, s13
	s_and_b32 s27, s27, s0
	s_and_b32 s34, s14, s26
	s_xor_b32 s14, s31, -1
	s_and_b32 s31, s27, s13
	s_and_b32 s29, s28, s29
	;; [unrolled: 1-line block ×4, first 2 shown]
	s_xor_b32 s80, s27, -1
	s_and_b32 s27, s29, s26
	s_and_b32 s30, s30, s26
	s_xor_b32 s82, s27, -1
	s_and_b32 s27, s28, s0
	v_cmp_gt_i32_e64 s0, s15, v4
	s_and_b32 s1, s28, s1
	s_xor_b32 s78, s30, -1
	s_and_b32 s30, s29, s13
	s_and_b32 s29, s1, s13
	;; [unrolled: 1-line block ×4, first 2 shown]
	s_xor_b32 s84, s1, -1
	s_and_b32 s1, s26, s0
	s_wait_kmcnt 0x0
	s_add_co_i32 s26, s23, -1
	s_xor_b32 s76, s34, -1
	s_xor_b32 s77, s35, -1
	;; [unrolled: 1-line block ×6, first 2 shown]
	s_and_b32 s86, s27, s1
	s_ashr_i32 s27, s26, 31
	s_add_co_i32 s34, s23, -2
	s_cmp_gt_i32 s23, 1
	s_mul_u64 s[28:29], s[20:21], s[26:27]
	s_mov_b32 s27, s3
	s_cselect_b32 s87, -1, 0
	s_ashr_i32 s31, s15, 31
	s_add_co_i32 s50, s15, -2
	s_cmp_gt_i32 s15, 1
	s_mul_u64 s[40:41], s[20:21], s[26:27]
	s_mov_b32 s35, s3
	s_cselect_b32 s88, -1, 0
	s_lshl_b64 s[40:41], s[40:41], 4
	s_mul_u64 s[36:37], s[20:21], s[34:35]
	s_add_nc_u64 s[40:41], s[40:41], s[48:49]
	s_lshl_b64 s[36:37], s[36:37], 4
	s_add_nc_u64 s[42:43], s[16:17], s[40:41]
	s_lshl_b64 s[40:41], s[20:21], 4
	s_add_nc_u64 s[36:37], s[36:37], s[48:49]
	s_add_nc_u64 s[46:47], s[48:49], s[40:41]
	;; [unrolled: 1-line block ×4, first 2 shown]
	v_lshl_add_u64 v[2:3], v[2:3], 4, s[48:49]
	v_add_nc_u64_e32 v[6:7], s[36:37], v[0:1]
	v_add_nc_u64_e32 v[10:11], s[24:25], v[0:1]
	;; [unrolled: 1-line block ×4, first 2 shown]
	s_add_co_i32 s46, s15, -1
	s_lshl_b64 s[48:49], s[50:51], 4
	s_mov_b32 s47, s3
	s_add_nc_u64 s[48:49], s[16:17], s[48:49]
	s_lshl_b64 s[52:53], s[46:47], 4
	v_add_nc_u64_e32 v[14:15], s[48:49], v[2:3]
	s_add_nc_u64 s[48:49], s[16:17], s[52:53]
	v_add_nc_u64_e32 v[26:27], s[16:17], v[2:3]
	v_add_nc_u64_e32 v[2:3], s[48:49], v[2:3]
	;; [unrolled: 1-line block ×11, first 2 shown]
	s_ashr_i32 s13, s12, 31
	v_cmp_gt_i32_e64 s1, s23, v4
	v_mov_b32_e32 v5, 0
	s_lshl_b64 s[38:39], s[34:35], 3
	s_lshl_b64 s[48:49], s[50:51], 3
	s_mul_u64 s[50:51], s[20:21], s[12:13]
	s_mov_b32 s30, s15
	s_add_nc_u64 s[34:35], s[4:5], s[38:39]
	s_lshl_b64 s[6:7], s[6:7], 3
	s_add_nc_u64 s[36:37], s[8:9], s[38:39]
	s_lshl_b64 s[10:11], s[10:11], 3
	s_lshl_b64 s[38:39], s[18:19], 4
	;; [unrolled: 1-line block ×3, first 2 shown]
	s_sub_nc_u64 s[44:45], 0, s[40:41]
	s_add_co_i32 s27, s23, 1
	s_add_nc_u64 s[16:17], s[4:5], s[48:49]
	s_add_nc_u64 s[48:49], s[8:9], s[48:49]
	s_lshl_b64 s[50:51], s[50:51], 4
	s_add_co_i32 s13, s15, 1
	s_branch .LBB66_4
.LBB66_2:                               ;   in Loop: Header=BB66_4 Depth=1
	s_or_b32 exec_lo, exec_lo, s47
.LBB66_3:                               ;   in Loop: Header=BB66_4 Depth=1
	s_add_co_i32 s2, s2, s22
	s_delay_alu instid0(SALU_CYCLE_1)
	s_cmp_ge_u32 s2, s33
	s_cbranch_scc1 .LBB66_108
.LBB66_4:                               ; =>This Loop Header: Depth=1
                                        ;     Child Loop BB66_19 Depth 2
                                        ;       Child Loop BB66_20 Depth 3
                                        ;     Child Loop BB66_26 Depth 2
                                        ;       Child Loop BB66_27 Depth 3
	;; [unrolled: 2-line block ×12, first 2 shown]
	s_mul_u64 s[56:57], s[18:19], s[2:3]
	s_mul_u64 s[66:67], s[10:11], s[2:3]
	;; [unrolled: 1-line block ×3, first 2 shown]
	s_lshl_b64 s[56:57], s[56:57], 4
	s_add_nc_u64 s[52:53], s[8:9], s[66:67]
	s_add_nc_u64 s[54:55], s[4:5], s[64:65]
	s_mul_u64 s[58:59], s[38:39], s[2:3]
	s_add_nc_u64 s[56:57], s[24:25], s[56:57]
	s_and_b32 vcc_lo, exec_lo, s14
	s_mov_b32 s47, -1
	s_cbranch_vccnz .LBB66_6
; %bb.5:                                ;   in Loop: Header=BB66_4 Depth=1
	s_and_not1_b32 vcc_lo, exec_lo, s47
	s_cbranch_vccnz .LBB66_3
	s_branch .LBB66_103
.LBB66_6:                               ;   in Loop: Header=BB66_4 Depth=1
	s_add_nc_u64 s[60:61], s[16:17], s[64:65]
	s_add_nc_u64 s[62:63], s[48:49], s[66:67]
	s_and_b32 vcc_lo, exec_lo, s76
	s_cbranch_vccz .LBB66_95
; %bb.7:                                ;   in Loop: Header=BB66_4 Depth=1
	s_and_b32 vcc_lo, exec_lo, s77
	s_cbranch_vccz .LBB66_87
; %bb.8:                                ;   in Loop: Header=BB66_4 Depth=1
	;; [unrolled: 3-line block ×3, first 2 shown]
	s_and_b32 vcc_lo, exec_lo, s79
	s_cbranch_vccz .LBB66_71
; %bb.10:                               ;   in Loop: Header=BB66_4 Depth=1
	s_and_b32 vcc_lo, exec_lo, s80
	s_cbranch_vccz .LBB66_63
; %bb.11:                               ;   in Loop: Header=BB66_4 Depth=1
	v_add_nc_u64_e32 v[28:29], s[58:59], v[10:11]
	s_and_b32 vcc_lo, exec_lo, s81
	s_cbranch_vccz .LBB66_55
; %bb.12:                               ;   in Loop: Header=BB66_4 Depth=1
	v_add_nc_u64_e32 v[30:31], s[58:59], v[12:13]
	s_add_nc_u64 s[64:65], s[34:35], s[64:65]
	s_add_nc_u64 s[66:67], s[36:37], s[66:67]
	s_and_b32 vcc_lo, exec_lo, s82
	s_cbranch_vccz .LBB66_46
; %bb.13:                               ;   in Loop: Header=BB66_4 Depth=1
	s_and_b32 vcc_lo, exec_lo, s83
	s_cbranch_vccz .LBB66_38
; %bb.14:                               ;   in Loop: Header=BB66_4 Depth=1
	;; [unrolled: 3-line block ×4, first 2 shown]
	s_and_saveexec_b32 s47, s86
	s_cbranch_execz .LBB66_21
; %bb.17:                               ;   in Loop: Header=BB66_4 Depth=1
	v_add_nc_u64_e32 v[32:33], s[58:59], v[8:9]
	v_mov_b32_e32 v34, v4
	s_lshl_b64 s[68:69], s[28:29], 4
	s_mov_b32 s74, 0
	s_add_nc_u64 s[68:69], s[56:57], s[68:69]
	s_branch .LBB66_19
.LBB66_18:                              ;   in Loop: Header=BB66_19 Depth=2
	v_ashrrev_i32_e32 v35, 31, v34
	v_add_nc_u64_e32 v[32:33], s[42:43], v[32:33]
	s_delay_alu instid0(VALU_DEP_2)
	v_lshl_add_u64 v[36:37], v[34:35], 4, s[68:69]
	s_wait_xcnt 0x0
	v_add_nc_u32_e32 v34, s12, v34
	s_wait_loadcnt 0x0
	global_store_b128 v[36:37], v[0:3], off
	v_cmp_le_i32_e32 vcc_lo, s15, v34
	s_or_b32 s74, vcc_lo, s74
	s_wait_xcnt 0x0
	s_and_not1_b32 exec_lo, exec_lo, s74
	s_cbranch_execz .LBB66_21
.LBB66_19:                              ;   Parent Loop BB66_4 Depth=1
                                        ; =>  This Loop Header: Depth=2
                                        ;       Child Loop BB66_20 Depth 3
	global_load_b128 v[0:3], v34, s[68:69] scale_offset
	v_mov_b64_e32 v[36:37], v[32:33]
	s_and_not1_b32 vcc_lo, exec_lo, s87
	s_mov_b64 s[70:71], s[66:67]
	s_mov_b64 s[72:73], s[64:65]
	s_mov_b32 s75, s26
	s_cbranch_vccnz .LBB66_18
.LBB66_20:                              ;   Parent Loop BB66_4 Depth=1
                                        ;     Parent Loop BB66_19 Depth=2
                                        ; =>    This Inner Loop Header: Depth=3
	global_load_b128 v[38:41], v[36:37], off offset:-8
	s_clause 0x1
	global_load_b64 v[46:47], v5, s[72:73]
	global_load_b64 v[48:49], v5, s[70:71]
	s_add_co_i32 s75, s75, -1
	s_wait_xcnt 0x1
	s_add_nc_u64 s[72:73], s[72:73], -8
	s_cmp_eq_u32 s75, 0
	s_wait_xcnt 0x0
	s_add_nc_u64 s[70:71], s[70:71], -8
	s_wait_loadcnt 0x1
	v_mul_f64_e32 v[42:43], v[46:47], v[38:39]
	v_mul_f64_e32 v[44:45], v[46:47], v[40:41]
	s_wait_loadcnt 0x0
	v_mul_f64_e32 v[38:39], v[48:49], v[38:39]
	v_mul_f64_e32 v[40:41], v[48:49], v[40:41]
	s_delay_alu instid0(VALU_DEP_4) | instskip(NEXT) | instid1(VALU_DEP_4)
	v_fmac_f64_e32 v[42:43], v[0:1], v[48:49]
	v_fmac_f64_e32 v[44:45], v[2:3], v[48:49]
	s_delay_alu instid0(VALU_DEP_4) | instskip(NEXT) | instid1(VALU_DEP_4)
	v_fma_f64 v[0:1], v[0:1], v[46:47], -v[38:39]
	v_fma_f64 v[2:3], v[2:3], v[46:47], -v[40:41]
	global_store_b128 v[36:37], v[42:45], off offset:-8
	s_wait_xcnt 0x0
	v_add_nc_u64_e32 v[36:37], s[44:45], v[36:37]
	s_cbranch_scc0 .LBB66_20
	s_branch .LBB66_18
.LBB66_21:                              ;   in Loop: Header=BB66_4 Depth=1
	s_or_b32 exec_lo, exec_lo, s47
	s_mov_b32 s47, 0
.LBB66_22:                              ;   in Loop: Header=BB66_4 Depth=1
	s_delay_alu instid0(SALU_CYCLE_1)
	s_and_not1_b32 vcc_lo, exec_lo, s47
	s_cbranch_vccnz .LBB66_29
; %bb.23:                               ;   in Loop: Header=BB66_4 Depth=1
	s_and_saveexec_b32 s47, s0
	s_cbranch_execz .LBB66_28
; %bb.24:                               ;   in Loop: Header=BB66_4 Depth=1
	v_mov_b64_e32 v[32:33], v[28:29]
	v_mov_b32_e32 v34, v4
	s_lshl_b64 s[68:69], s[28:29], 4
	s_mov_b32 s74, 0
	s_add_nc_u64 s[68:69], s[56:57], s[68:69]
	s_branch .LBB66_26
.LBB66_25:                              ;   in Loop: Header=BB66_26 Depth=2
	v_ashrrev_i32_e32 v35, 31, v34
	v_add_nc_u64_e32 v[32:33], s[42:43], v[32:33]
	s_delay_alu instid0(VALU_DEP_2)
	v_lshl_add_u64 v[36:37], v[34:35], 4, s[68:69]
	s_wait_xcnt 0x0
	v_add_nc_u32_e32 v34, s12, v34
	s_wait_loadcnt 0x0
	global_store_b128 v[36:37], v[0:3], off
	v_cmp_le_i32_e32 vcc_lo, s15, v34
	s_or_b32 s74, vcc_lo, s74
	s_wait_xcnt 0x0
	s_and_not1_b32 exec_lo, exec_lo, s74
	s_cbranch_execz .LBB66_28
.LBB66_26:                              ;   Parent Loop BB66_4 Depth=1
                                        ; =>  This Loop Header: Depth=2
                                        ;       Child Loop BB66_27 Depth 3
	global_load_b128 v[0:3], v34, s[68:69] scale_offset
	v_mov_b64_e32 v[36:37], v[32:33]
	s_and_not1_b32 vcc_lo, exec_lo, s87
	s_mov_b64 s[70:71], s[52:53]
	s_mov_b64 s[72:73], s[54:55]
	s_mov_b32 s75, s26
	s_cbranch_vccnz .LBB66_25
.LBB66_27:                              ;   Parent Loop BB66_4 Depth=1
                                        ;     Parent Loop BB66_26 Depth=2
                                        ; =>    This Inner Loop Header: Depth=3
	global_load_b128 v[38:41], v[36:37], off offset:-8
	s_clause 0x1
	global_load_b64 v[46:47], v5, s[72:73]
	global_load_b64 v[48:49], v5, s[70:71]
	s_add_co_i32 s75, s75, -1
	s_wait_xcnt 0x1
	s_add_nc_u64 s[72:73], s[72:73], 8
	s_cmp_eq_u32 s75, 0
	s_wait_xcnt 0x0
	s_add_nc_u64 s[70:71], s[70:71], 8
	s_wait_loadcnt 0x1
	v_mul_f64_e32 v[42:43], v[46:47], v[38:39]
	v_mul_f64_e32 v[44:45], v[46:47], v[40:41]
	s_wait_loadcnt 0x0
	v_mul_f64_e32 v[38:39], v[48:49], v[38:39]
	v_mul_f64_e32 v[40:41], v[48:49], v[40:41]
	s_delay_alu instid0(VALU_DEP_4) | instskip(NEXT) | instid1(VALU_DEP_4)
	v_fmac_f64_e32 v[42:43], v[0:1], v[48:49]
	v_fmac_f64_e32 v[44:45], v[2:3], v[48:49]
	s_delay_alu instid0(VALU_DEP_4) | instskip(NEXT) | instid1(VALU_DEP_4)
	v_fma_f64 v[0:1], v[0:1], v[46:47], -v[38:39]
	v_fma_f64 v[2:3], v[2:3], v[46:47], -v[40:41]
	global_store_b128 v[36:37], v[42:45], off offset:-8
	s_wait_xcnt 0x0
	v_add_nc_u64_e32 v[36:37], s[40:41], v[36:37]
	s_cbranch_scc0 .LBB66_27
	s_branch .LBB66_25
.LBB66_28:                              ;   in Loop: Header=BB66_4 Depth=1
	s_or_b32 exec_lo, exec_lo, s47
.LBB66_29:                              ;   in Loop: Header=BB66_4 Depth=1
	s_mov_b32 s47, 0
.LBB66_30:                              ;   in Loop: Header=BB66_4 Depth=1
	s_delay_alu instid0(SALU_CYCLE_1)
	s_and_not1_b32 vcc_lo, exec_lo, s47
	s_cbranch_vccnz .LBB66_37
; %bb.31:                               ;   in Loop: Header=BB66_4 Depth=1
	s_and_saveexec_b32 s47, s0
	s_cbranch_execz .LBB66_36
; %bb.32:                               ;   in Loop: Header=BB66_4 Depth=1
	v_mov_b64_e32 v[32:33], v[30:31]
	v_mov_b32_e32 v34, v4
	s_mov_b32 s72, 0
	s_branch .LBB66_34
.LBB66_33:                              ;   in Loop: Header=BB66_34 Depth=2
	v_ashrrev_i32_e32 v35, 31, v34
	v_add_nc_u64_e32 v[32:33], s[42:43], v[32:33]
	s_delay_alu instid0(VALU_DEP_2)
	v_lshl_add_u64 v[36:37], v[34:35], 4, s[56:57]
	s_wait_xcnt 0x0
	v_add_nc_u32_e32 v34, s12, v34
	s_wait_loadcnt 0x0
	global_store_b128 v[36:37], v[0:3], off
	v_cmp_le_i32_e32 vcc_lo, s15, v34
	s_or_b32 s72, vcc_lo, s72
	s_wait_xcnt 0x0
	s_and_not1_b32 exec_lo, exec_lo, s72
	s_cbranch_execz .LBB66_36
.LBB66_34:                              ;   Parent Loop BB66_4 Depth=1
                                        ; =>  This Loop Header: Depth=2
                                        ;       Child Loop BB66_35 Depth 3
	global_load_b128 v[0:3], v34, s[56:57] scale_offset
	v_mov_b64_e32 v[36:37], v[32:33]
	s_and_not1_b32 vcc_lo, exec_lo, s87
	s_mov_b64 s[68:69], s[66:67]
	s_mov_b64 s[70:71], s[64:65]
	s_mov_b32 s73, s27
	s_cbranch_vccnz .LBB66_33
.LBB66_35:                              ;   Parent Loop BB66_4 Depth=1
                                        ;     Parent Loop BB66_34 Depth=2
                                        ; =>    This Inner Loop Header: Depth=3
	s_clause 0x1
	global_load_b64 v[42:43], v5, s[68:69]
	global_load_b64 v[44:45], v5, s[70:71]
	global_load_b128 v[38:41], v[36:37], off offset:-8
	s_wait_loadcnt 0x3
	v_mov_b64_e32 v[46:47], v[0:1]
	v_mov_b64_e32 v[48:49], v[2:3]
	s_add_co_i32 s73, s73, -1
	s_wait_xcnt 0x1
	s_add_nc_u64 s[70:71], s[70:71], -8
	s_cmp_lt_u32 s73, 3
	s_add_nc_u64 s[68:69], s[68:69], -8
	s_wait_loadcnt 0x2
	v_mul_f64_e32 v[50:51], v[46:47], v[42:43]
	v_mul_f64_e32 v[52:53], v[48:49], v[42:43]
	s_wait_loadcnt 0x0
	v_mul_f64_e32 v[0:1], v[42:43], v[38:39]
	v_mul_f64_e32 v[2:3], v[42:43], v[40:41]
	s_delay_alu instid0(VALU_DEP_4) | instskip(NEXT) | instid1(VALU_DEP_4)
	v_fma_f64 v[38:39], v[44:45], v[38:39], -v[50:51]
	v_fma_f64 v[40:41], v[44:45], v[40:41], -v[52:53]
	s_delay_alu instid0(VALU_DEP_4) | instskip(NEXT) | instid1(VALU_DEP_4)
	v_fmac_f64_e32 v[0:1], v[46:47], v[44:45]
	v_fmac_f64_e32 v[2:3], v[48:49], v[44:45]
	global_store_b128 v[36:37], v[38:41], off offset:-8
	s_wait_xcnt 0x0
	v_add_nc_u64_e32 v[36:37], s[44:45], v[36:37]
	s_cbranch_scc0 .LBB66_35
	s_branch .LBB66_33
.LBB66_36:                              ;   in Loop: Header=BB66_4 Depth=1
	s_or_b32 exec_lo, exec_lo, s47
.LBB66_37:                              ;   in Loop: Header=BB66_4 Depth=1
	s_mov_b32 s47, 0
.LBB66_38:                              ;   in Loop: Header=BB66_4 Depth=1
	s_delay_alu instid0(SALU_CYCLE_1)
	s_and_not1_b32 vcc_lo, exec_lo, s47
	s_cbranch_vccnz .LBB66_45
; %bb.39:                               ;   in Loop: Header=BB66_4 Depth=1
	s_and_saveexec_b32 s47, s0
	s_cbranch_execz .LBB66_44
; %bb.40:                               ;   in Loop: Header=BB66_4 Depth=1
	v_add_nc_u64_e32 v[32:33], s[58:59], v[16:17]
	v_mov_b32_e32 v34, v4
	s_mov_b32 s72, 0
	s_branch .LBB66_42
.LBB66_41:                              ;   in Loop: Header=BB66_42 Depth=2
	v_ashrrev_i32_e32 v35, 31, v34
	v_add_nc_u64_e32 v[32:33], s[42:43], v[32:33]
	s_delay_alu instid0(VALU_DEP_2)
	v_lshl_add_u64 v[36:37], v[34:35], 4, s[56:57]
	s_wait_xcnt 0x0
	v_add_nc_u32_e32 v34, s12, v34
	s_wait_loadcnt 0x0
	global_store_b128 v[36:37], v[0:3], off
	v_cmp_le_i32_e32 vcc_lo, s15, v34
	s_or_b32 s72, vcc_lo, s72
	s_wait_xcnt 0x0
	s_and_not1_b32 exec_lo, exec_lo, s72
	s_cbranch_execz .LBB66_44
.LBB66_42:                              ;   Parent Loop BB66_4 Depth=1
                                        ; =>  This Loop Header: Depth=2
                                        ;       Child Loop BB66_43 Depth 3
	global_load_b128 v[0:3], v34, s[56:57] scale_offset
	v_mov_b64_e32 v[36:37], v[32:33]
	s_and_not1_b32 vcc_lo, exec_lo, s87
	s_mov_b32 s73, s26
	s_mov_b64 s[68:69], s[54:55]
	s_mov_b64 s[70:71], s[52:53]
	s_cbranch_vccnz .LBB66_41
.LBB66_43:                              ;   Parent Loop BB66_4 Depth=1
                                        ;     Parent Loop BB66_42 Depth=2
                                        ; =>    This Inner Loop Header: Depth=3
	s_clause 0x1
	global_load_b64 v[42:43], v5, s[70:71]
	global_load_b64 v[44:45], v5, s[68:69]
	global_load_b128 v[38:41], v[36:37], off offset:-8
	s_wait_loadcnt 0x3
	v_mov_b64_e32 v[46:47], v[0:1]
	v_mov_b64_e32 v[48:49], v[2:3]
	s_add_co_i32 s73, s73, -1
	s_wait_xcnt 0x2
	s_add_nc_u64 s[70:71], s[70:71], 8
	s_cmp_eq_u32 s73, 0
	s_wait_xcnt 0x1
	s_add_nc_u64 s[68:69], s[68:69], 8
	s_wait_loadcnt 0x2
	v_mul_f64_e32 v[50:51], v[46:47], v[42:43]
	v_mul_f64_e32 v[52:53], v[48:49], v[42:43]
	s_wait_loadcnt 0x0
	v_mul_f64_e32 v[0:1], v[42:43], v[38:39]
	v_mul_f64_e32 v[2:3], v[42:43], v[40:41]
	s_delay_alu instid0(VALU_DEP_4) | instskip(NEXT) | instid1(VALU_DEP_4)
	v_fma_f64 v[38:39], v[44:45], v[38:39], -v[50:51]
	v_fma_f64 v[40:41], v[44:45], v[40:41], -v[52:53]
	s_delay_alu instid0(VALU_DEP_4) | instskip(NEXT) | instid1(VALU_DEP_4)
	v_fmac_f64_e32 v[0:1], v[46:47], v[44:45]
	v_fmac_f64_e32 v[2:3], v[48:49], v[44:45]
	global_store_b128 v[36:37], v[38:41], off offset:-8
	s_wait_xcnt 0x0
	v_add_nc_u64_e32 v[36:37], s[40:41], v[36:37]
	s_cbranch_scc0 .LBB66_43
	s_branch .LBB66_41
.LBB66_44:                              ;   in Loop: Header=BB66_4 Depth=1
	s_or_b32 exec_lo, exec_lo, s47
.LBB66_45:                              ;   in Loop: Header=BB66_4 Depth=1
	s_mov_b32 s47, 0
.LBB66_46:                              ;   in Loop: Header=BB66_4 Depth=1
	s_delay_alu instid0(SALU_CYCLE_1)
	s_and_not1_b32 vcc_lo, exec_lo, s47
	s_cbranch_vccnz .LBB66_54
; %bb.47:                               ;   in Loop: Header=BB66_4 Depth=1
	s_and_saveexec_b32 s47, s0
	s_cbranch_execz .LBB66_53
; %bb.48:                               ;   in Loop: Header=BB66_4 Depth=1
	v_add_nc_u64_e32 v[32:33], s[58:59], v[6:7]
	v_mov_b32_e32 v34, v4
	s_lshl_b64 s[68:69], s[28:29], 4
	s_mov_b32 s89, 0
	s_add_nc_u64 s[68:69], s[56:57], s[68:69]
	s_branch .LBB66_50
.LBB66_49:                              ;   in Loop: Header=BB66_50 Depth=2
	v_ashrrev_i32_e32 v35, 31, v34
	v_add_nc_u64_e32 v[32:33], s[42:43], v[32:33]
	v_add_nc_u64_e32 v[30:31], s[42:43], v[30:31]
	s_wait_xcnt 0x0
	s_delay_alu instid0(VALU_DEP_3)
	v_lshl_add_u64 v[36:37], v[34:35], 4, s[56:57]
	v_add_nc_u32_e32 v34, s12, v34
	s_wait_loadcnt 0x0
	global_store_b128 v[36:37], v[0:3], off
	v_cmp_le_i32_e32 vcc_lo, s15, v34
	s_or_b32 s89, vcc_lo, s89
	s_wait_xcnt 0x0
	s_and_not1_b32 exec_lo, exec_lo, s89
	s_cbranch_execz .LBB66_53
.LBB66_50:                              ;   Parent Loop BB66_4 Depth=1
                                        ; =>  This Loop Header: Depth=2
                                        ;       Child Loop BB66_52 Depth 3
	global_load_b128 v[0:3], v34, s[68:69] scale_offset
	s_and_not1_b32 vcc_lo, exec_lo, s87
	s_cbranch_vccnz .LBB66_49
; %bb.51:                               ;   in Loop: Header=BB66_50 Depth=2
	s_mov_b64 s[70:71], 0
	s_mov_b64 s[72:73], s[66:67]
	;; [unrolled: 1-line block ×3, first 2 shown]
	s_mov_b32 s90, s26
.LBB66_52:                              ;   Parent Loop BB66_4 Depth=1
                                        ;     Parent Loop BB66_50 Depth=2
                                        ; =>    This Inner Loop Header: Depth=3
	s_wait_xcnt 0x0
	v_add_nc_u64_e32 v[36:37], s[70:71], v[32:33]
	s_wait_loadcnt 0x0
	v_mov_b64_e32 v[44:45], v[2:3]
	v_mov_b64_e32 v[46:47], v[0:1]
	s_add_co_i32 s90, s90, -1
	s_clause 0x1
	global_load_b64 v[40:41], v5, s[74:75]
	global_load_b64 v[42:43], v5, s[72:73]
	global_load_b128 v[36:39], v[36:37], off
	s_wait_xcnt 0x2
	s_add_nc_u64 s[74:75], s[74:75], -8
	s_cmp_eq_u32 s90, 0
	s_wait_xcnt 0x1
	s_add_nc_u64 s[72:73], s[72:73], -8
	s_wait_loadcnt 0x0
	v_mul_f64_e32 v[48:49], v[42:43], v[36:37]
	v_mul_f64_e32 v[50:51], v[42:43], v[38:39]
	;; [unrolled: 1-line block ×4, first 2 shown]
	s_wait_xcnt 0x0
	s_delay_alu instid0(VALU_DEP_4) | instskip(NEXT) | instid1(VALU_DEP_4)
	v_fma_f64 v[36:37], v[46:47], v[40:41], -v[48:49]
	v_fma_f64 v[38:39], v[44:45], v[40:41], -v[50:51]
	s_delay_alu instid0(VALU_DEP_4) | instskip(NEXT) | instid1(VALU_DEP_4)
	v_fmac_f64_e32 v[0:1], v[46:47], v[42:43]
	v_fmac_f64_e32 v[2:3], v[44:45], v[42:43]
	v_add_nc_u64_e32 v[40:41], s[70:71], v[30:31]
	s_sub_nc_u64 s[70:71], s[70:71], s[40:41]
	global_store_b128 v[40:41], v[36:39], off offset:-8
	s_cbranch_scc0 .LBB66_52
	s_branch .LBB66_49
.LBB66_53:                              ;   in Loop: Header=BB66_4 Depth=1
	s_or_b32 exec_lo, exec_lo, s47
.LBB66_54:                              ;   in Loop: Header=BB66_4 Depth=1
	s_mov_b32 s47, 0
.LBB66_55:                              ;   in Loop: Header=BB66_4 Depth=1
	s_delay_alu instid0(SALU_CYCLE_1)
	s_and_not1_b32 vcc_lo, exec_lo, s47
	s_cbranch_vccnz .LBB66_62
; %bb.56:                               ;   in Loop: Header=BB66_4 Depth=1
	s_and_saveexec_b32 s47, s0
	s_cbranch_execz .LBB66_61
; %bb.57:                               ;   in Loop: Header=BB66_4 Depth=1
	v_mov_b32_e32 v30, v4
	s_lshl_b64 s[64:65], s[28:29], 4
	s_mov_b32 s70, 0
	s_add_nc_u64 s[64:65], s[56:57], s[64:65]
	s_branch .LBB66_59
.LBB66_58:                              ;   in Loop: Header=BB66_59 Depth=2
	v_ashrrev_i32_e32 v31, 31, v30
	v_add_nc_u64_e32 v[28:29], s[42:43], v[28:29]
	s_delay_alu instid0(VALU_DEP_2)
	v_lshl_add_u64 v[32:33], v[30:31], 4, s[64:65]
	s_wait_xcnt 0x0
	v_add_nc_u32_e32 v30, s12, v30
	s_wait_loadcnt 0x0
	global_store_b128 v[32:33], v[0:3], off
	v_cmp_le_i32_e32 vcc_lo, s15, v30
	s_or_b32 s70, vcc_lo, s70
	s_wait_xcnt 0x0
	s_and_not1_b32 exec_lo, exec_lo, s70
	s_cbranch_execz .LBB66_61
.LBB66_59:                              ;   Parent Loop BB66_4 Depth=1
                                        ; =>  This Loop Header: Depth=2
                                        ;       Child Loop BB66_60 Depth 3
	global_load_b128 v[0:3], v30, s[56:57] scale_offset
	v_mov_b64_e32 v[32:33], v[28:29]
	s_and_not1_b32 vcc_lo, exec_lo, s87
	s_mov_b64 s[66:67], s[52:53]
	s_mov_b64 s[68:69], s[54:55]
	s_mov_b32 s71, s26
	s_cbranch_vccnz .LBB66_58
.LBB66_60:                              ;   Parent Loop BB66_4 Depth=1
                                        ;     Parent Loop BB66_59 Depth=2
                                        ; =>    This Inner Loop Header: Depth=3
	s_delay_alu instid0(VALU_DEP_1)
	v_add_nc_u64_e32 v[42:43], s[40:41], v[32:33]
	s_add_co_i32 s71, s71, -1
	global_load_b128 v[34:37], v[42:43], off offset:-8
	s_clause 0x1
	global_load_b64 v[44:45], v5, s[66:67]
	global_load_b64 v[46:47], v5, s[68:69]
	s_wait_xcnt 0x0
	s_add_nc_u64 s[68:69], s[68:69], 8
	s_cmp_eq_u32 s71, 0
	s_add_nc_u64 s[66:67], s[66:67], 8
	s_wait_loadcnt 0x1
	v_mul_f64_e32 v[38:39], v[44:45], v[34:35]
	v_mul_f64_e32 v[40:41], v[44:45], v[36:37]
	v_mul_f64_e32 v[48:49], v[0:1], v[44:45]
	v_mul_f64_e32 v[44:45], v[2:3], v[44:45]
	s_wait_loadcnt 0x0
	s_delay_alu instid0(VALU_DEP_4) | instskip(NEXT) | instid1(VALU_DEP_4)
	v_fmac_f64_e32 v[38:39], v[0:1], v[46:47]
	v_fmac_f64_e32 v[40:41], v[2:3], v[46:47]
	s_delay_alu instid0(VALU_DEP_4) | instskip(NEXT) | instid1(VALU_DEP_4)
	v_fma_f64 v[0:1], v[46:47], v[34:35], -v[48:49]
	v_fma_f64 v[2:3], v[46:47], v[36:37], -v[44:45]
	global_store_b128 v[32:33], v[38:41], off offset:-8
	s_wait_xcnt 0x0
	v_mov_b64_e32 v[32:33], v[42:43]
	s_cbranch_scc0 .LBB66_60
	s_branch .LBB66_58
.LBB66_61:                              ;   in Loop: Header=BB66_4 Depth=1
	s_or_b32 exec_lo, exec_lo, s47
.LBB66_62:                              ;   in Loop: Header=BB66_4 Depth=1
	s_mov_b32 s47, 0
.LBB66_63:                              ;   in Loop: Header=BB66_4 Depth=1
	s_delay_alu instid0(SALU_CYCLE_1)
	s_and_not1_b32 vcc_lo, exec_lo, s47
	s_cbranch_vccnz .LBB66_70
; %bb.64:                               ;   in Loop: Header=BB66_4 Depth=1
	s_and_saveexec_b32 s47, s1
	s_cbranch_execz .LBB66_69
; %bb.65:                               ;   in Loop: Header=BB66_4 Depth=1
	v_add_nc_u64_e32 v[28:29], s[58:59], v[18:19]
	v_mov_b32_e32 v30, v4
	s_lshl_b64 s[64:65], s[30:31], 4
	s_mov_b32 s70, 0
	s_add_nc_u64 s[64:65], s[56:57], s[64:65]
	s_branch .LBB66_67
.LBB66_66:                              ;   in Loop: Header=BB66_67 Depth=2
	v_add_nc_u32_e32 v30, s12, v30
	v_add_nc_u64_e32 v[28:29], s[50:51], v[28:29]
	s_wait_loadcnt 0x0
	global_store_b128 v[32:33], v[0:3], off offset:-16
	v_cmp_le_i32_e32 vcc_lo, s23, v30
	s_or_b32 s70, vcc_lo, s70
	s_wait_xcnt 0x0
	s_and_not1_b32 exec_lo, exec_lo, s70
	s_cbranch_execz .LBB66_69
.LBB66_67:                              ;   Parent Loop BB66_4 Depth=1
                                        ; =>  This Loop Header: Depth=2
                                        ;       Child Loop BB66_68 Depth 3
	v_ashrrev_i32_e32 v31, 31, v30
	v_mov_b64_e32 v[34:35], v[28:29]
	s_and_not1_b32 vcc_lo, exec_lo, s88
	s_mov_b64 s[66:67], s[62:63]
	s_mov_b64 s[68:69], s[60:61]
	v_mul_u64_e32 v[0:1], s[20:21], v[30:31]
	s_mov_b32 s71, s46
	s_delay_alu instid0(VALU_DEP_1)
	v_lshl_add_u64 v[32:33], v[0:1], 4, s[64:65]
	global_load_b128 v[0:3], v[32:33], off offset:-16
	s_cbranch_vccnz .LBB66_66
.LBB66_68:                              ;   Parent Loop BB66_4 Depth=1
                                        ;     Parent Loop BB66_67 Depth=2
                                        ; =>    This Inner Loop Header: Depth=3
	global_load_b128 v[36:39], v[34:35], off offset:-8
	s_clause 0x1
	global_load_b64 v[44:45], v5, s[68:69]
	global_load_b64 v[46:47], v5, s[66:67]
	s_add_co_i32 s71, s71, -1
	s_wait_xcnt 0x1
	s_add_nc_u64 s[68:69], s[68:69], -8
	s_cmp_eq_u32 s71, 0
	s_wait_xcnt 0x0
	s_add_nc_u64 s[66:67], s[66:67], -8
	s_wait_loadcnt 0x1
	v_mul_f64_e32 v[40:41], v[44:45], v[36:37]
	v_mul_f64_e32 v[42:43], v[44:45], v[38:39]
	s_wait_loadcnt 0x0
	v_mul_f64_e32 v[36:37], v[46:47], v[36:37]
	v_mul_f64_e32 v[38:39], v[46:47], v[38:39]
	s_delay_alu instid0(VALU_DEP_4) | instskip(NEXT) | instid1(VALU_DEP_4)
	v_fmac_f64_e32 v[40:41], v[0:1], v[46:47]
	v_fmac_f64_e32 v[42:43], v[2:3], v[46:47]
	s_delay_alu instid0(VALU_DEP_4) | instskip(NEXT) | instid1(VALU_DEP_4)
	v_fma_f64 v[0:1], v[0:1], v[44:45], -v[36:37]
	v_fma_f64 v[2:3], v[2:3], v[44:45], -v[38:39]
	global_store_b128 v[34:35], v[40:43], off offset:-8
	s_wait_xcnt 0x0
	v_add_nc_u64_e32 v[34:35], -16, v[34:35]
	s_cbranch_scc0 .LBB66_68
	s_branch .LBB66_66
.LBB66_69:                              ;   in Loop: Header=BB66_4 Depth=1
	s_or_b32 exec_lo, exec_lo, s47
.LBB66_70:                              ;   in Loop: Header=BB66_4 Depth=1
	s_mov_b32 s47, 0
.LBB66_71:                              ;   in Loop: Header=BB66_4 Depth=1
	s_delay_alu instid0(SALU_CYCLE_1)
	s_and_not1_b32 vcc_lo, exec_lo, s47
	s_cbranch_vccnz .LBB66_78
; %bb.72:                               ;   in Loop: Header=BB66_4 Depth=1
	s_and_saveexec_b32 s47, s1
	s_cbranch_execz .LBB66_77
; %bb.73:                               ;   in Loop: Header=BB66_4 Depth=1
	v_add_nc_u64_e32 v[28:29], s[58:59], v[20:21]
	v_mov_b32_e32 v30, v4
	s_lshl_b64 s[64:65], s[30:31], 4
	s_mov_b32 s70, 0
	s_add_nc_u64 s[64:65], s[56:57], s[64:65]
	s_branch .LBB66_75
.LBB66_74:                              ;   in Loop: Header=BB66_75 Depth=2
	v_add_nc_u32_e32 v30, s12, v30
	v_add_nc_u64_e32 v[28:29], s[50:51], v[28:29]
	s_wait_loadcnt 0x0
	global_store_b128 v[32:33], v[0:3], off offset:-16
	v_cmp_le_i32_e32 vcc_lo, s23, v30
	s_or_b32 s70, vcc_lo, s70
	s_wait_xcnt 0x0
	s_and_not1_b32 exec_lo, exec_lo, s70
	s_cbranch_execz .LBB66_77
.LBB66_75:                              ;   Parent Loop BB66_4 Depth=1
                                        ; =>  This Loop Header: Depth=2
                                        ;       Child Loop BB66_76 Depth 3
	v_ashrrev_i32_e32 v31, 31, v30
	v_mov_b64_e32 v[34:35], v[28:29]
	s_and_not1_b32 vcc_lo, exec_lo, s88
	s_mov_b64 s[66:67], s[52:53]
	s_mov_b64 s[68:69], s[54:55]
	v_mul_u64_e32 v[0:1], s[20:21], v[30:31]
	s_mov_b32 s71, s46
	s_delay_alu instid0(VALU_DEP_1)
	v_lshl_add_u64 v[32:33], v[0:1], 4, s[64:65]
	global_load_b128 v[0:3], v[32:33], off offset:-16
	s_cbranch_vccnz .LBB66_74
.LBB66_76:                              ;   Parent Loop BB66_4 Depth=1
                                        ;     Parent Loop BB66_75 Depth=2
                                        ; =>    This Inner Loop Header: Depth=3
	global_load_b128 v[36:39], v[34:35], off offset:-8
	s_clause 0x1
	global_load_b64 v[44:45], v5, s[68:69]
	global_load_b64 v[46:47], v5, s[66:67]
	s_add_co_i32 s71, s71, -1
	s_wait_xcnt 0x1
	s_add_nc_u64 s[68:69], s[68:69], 8
	s_cmp_eq_u32 s71, 0
	s_wait_xcnt 0x0
	s_add_nc_u64 s[66:67], s[66:67], 8
	s_wait_loadcnt 0x1
	v_mul_f64_e32 v[40:41], v[44:45], v[36:37]
	v_mul_f64_e32 v[42:43], v[44:45], v[38:39]
	s_wait_loadcnt 0x0
	v_mul_f64_e32 v[36:37], v[46:47], v[36:37]
	v_mul_f64_e32 v[38:39], v[46:47], v[38:39]
	s_delay_alu instid0(VALU_DEP_4) | instskip(NEXT) | instid1(VALU_DEP_4)
	v_fmac_f64_e32 v[40:41], v[0:1], v[46:47]
	v_fmac_f64_e32 v[42:43], v[2:3], v[46:47]
	s_delay_alu instid0(VALU_DEP_4) | instskip(NEXT) | instid1(VALU_DEP_4)
	v_fma_f64 v[0:1], v[0:1], v[44:45], -v[36:37]
	v_fma_f64 v[2:3], v[2:3], v[44:45], -v[38:39]
	global_store_b128 v[34:35], v[40:43], off offset:-8
	s_wait_xcnt 0x0
	v_add_nc_u64_e32 v[34:35], 16, v[34:35]
	s_cbranch_scc0 .LBB66_76
	s_branch .LBB66_74
.LBB66_77:                              ;   in Loop: Header=BB66_4 Depth=1
	s_or_b32 exec_lo, exec_lo, s47
.LBB66_78:                              ;   in Loop: Header=BB66_4 Depth=1
	s_mov_b32 s47, 0
.LBB66_79:                              ;   in Loop: Header=BB66_4 Depth=1
	s_delay_alu instid0(SALU_CYCLE_1)
	s_and_not1_b32 vcc_lo, exec_lo, s47
	s_cbranch_vccnz .LBB66_86
; %bb.80:                               ;   in Loop: Header=BB66_4 Depth=1
	s_and_saveexec_b32 s47, s1
	s_cbranch_execz .LBB66_85
; %bb.81:                               ;   in Loop: Header=BB66_4 Depth=1
	v_add_nc_u64_e32 v[28:29], s[58:59], v[22:23]
	v_mov_b32_e32 v30, v4
	s_mov_b32 s68, 0
	s_branch .LBB66_83
.LBB66_82:                              ;   in Loop: Header=BB66_83 Depth=2
	v_add_nc_u32_e32 v30, s12, v30
	v_add_nc_u64_e32 v[28:29], s[50:51], v[28:29]
	s_wait_loadcnt 0x0
	global_store_b128 v[32:33], v[0:3], off
	v_cmp_le_i32_e32 vcc_lo, s23, v30
	s_or_b32 s68, vcc_lo, s68
	s_wait_xcnt 0x0
	s_and_not1_b32 exec_lo, exec_lo, s68
	s_cbranch_execz .LBB66_85
.LBB66_83:                              ;   Parent Loop BB66_4 Depth=1
                                        ; =>  This Loop Header: Depth=2
                                        ;       Child Loop BB66_84 Depth 3
	s_delay_alu instid0(VALU_DEP_1) | instskip(NEXT) | instid1(VALU_DEP_3)
	v_ashrrev_i32_e32 v31, 31, v30
	v_mov_b64_e32 v[34:35], v[28:29]
	s_and_not1_b32 vcc_lo, exec_lo, s88
	s_mov_b64 s[64:65], s[62:63]
	s_mov_b64 s[66:67], s[60:61]
	v_mul_u64_e32 v[0:1], s[20:21], v[30:31]
	s_mov_b32 s69, s13
	s_delay_alu instid0(VALU_DEP_1)
	v_lshl_add_u64 v[32:33], v[0:1], 4, s[56:57]
	global_load_b128 v[0:3], v[32:33], off
	s_cbranch_vccnz .LBB66_82
.LBB66_84:                              ;   Parent Loop BB66_4 Depth=1
                                        ;     Parent Loop BB66_83 Depth=2
                                        ; =>    This Inner Loop Header: Depth=3
	s_clause 0x1
	global_load_b64 v[40:41], v5, s[64:65]
	global_load_b64 v[42:43], v5, s[66:67]
	global_load_b128 v[36:39], v[34:35], off offset:-8
	s_wait_loadcnt 0x3
	v_mov_b64_e32 v[44:45], v[0:1]
	v_mov_b64_e32 v[46:47], v[2:3]
	s_add_co_i32 s69, s69, -1
	s_wait_xcnt 0x1
	s_add_nc_u64 s[66:67], s[66:67], -8
	s_cmp_lt_u32 s69, 3
	s_add_nc_u64 s[64:65], s[64:65], -8
	s_wait_loadcnt 0x2
	v_mul_f64_e32 v[48:49], v[44:45], v[40:41]
	v_mul_f64_e32 v[50:51], v[46:47], v[40:41]
	s_wait_loadcnt 0x0
	v_mul_f64_e32 v[0:1], v[40:41], v[36:37]
	v_mul_f64_e32 v[2:3], v[40:41], v[38:39]
	s_delay_alu instid0(VALU_DEP_4) | instskip(NEXT) | instid1(VALU_DEP_4)
	v_fma_f64 v[36:37], v[42:43], v[36:37], -v[48:49]
	v_fma_f64 v[38:39], v[42:43], v[38:39], -v[50:51]
	s_delay_alu instid0(VALU_DEP_4) | instskip(NEXT) | instid1(VALU_DEP_4)
	v_fmac_f64_e32 v[0:1], v[44:45], v[42:43]
	v_fmac_f64_e32 v[2:3], v[46:47], v[42:43]
	global_store_b128 v[34:35], v[36:39], off offset:-8
	s_wait_xcnt 0x0
	v_add_nc_u64_e32 v[34:35], -16, v[34:35]
	s_cbranch_scc0 .LBB66_84
	s_branch .LBB66_82
.LBB66_85:                              ;   in Loop: Header=BB66_4 Depth=1
	s_or_b32 exec_lo, exec_lo, s47
.LBB66_86:                              ;   in Loop: Header=BB66_4 Depth=1
	s_mov_b32 s47, 0
.LBB66_87:                              ;   in Loop: Header=BB66_4 Depth=1
	s_delay_alu instid0(SALU_CYCLE_1)
	s_and_not1_b32 vcc_lo, exec_lo, s47
	s_cbranch_vccnz .LBB66_94
; %bb.88:                               ;   in Loop: Header=BB66_4 Depth=1
	s_and_saveexec_b32 s47, s1
	s_cbranch_execz .LBB66_93
; %bb.89:                               ;   in Loop: Header=BB66_4 Depth=1
	v_add_nc_u64_e32 v[28:29], s[58:59], v[24:25]
	v_mov_b32_e32 v30, v4
	s_mov_b32 s68, 0
	s_branch .LBB66_91
.LBB66_90:                              ;   in Loop: Header=BB66_91 Depth=2
	v_add_nc_u32_e32 v30, s12, v30
	v_add_nc_u64_e32 v[28:29], s[50:51], v[28:29]
	s_wait_loadcnt 0x0
	global_store_b128 v[32:33], v[0:3], off
	v_cmp_le_i32_e32 vcc_lo, s23, v30
	s_or_b32 s68, vcc_lo, s68
	s_wait_xcnt 0x0
	s_and_not1_b32 exec_lo, exec_lo, s68
	s_cbranch_execz .LBB66_93
.LBB66_91:                              ;   Parent Loop BB66_4 Depth=1
                                        ; =>  This Loop Header: Depth=2
                                        ;       Child Loop BB66_92 Depth 3
	s_delay_alu instid0(VALU_DEP_1) | instskip(NEXT) | instid1(VALU_DEP_3)
	v_ashrrev_i32_e32 v31, 31, v30
	v_mov_b64_e32 v[34:35], v[28:29]
	s_and_not1_b32 vcc_lo, exec_lo, s88
	s_mov_b32 s69, s46
	s_mov_b64 s[64:65], s[54:55]
	v_mul_u64_e32 v[0:1], s[20:21], v[30:31]
	s_mov_b64 s[66:67], s[52:53]
	s_delay_alu instid0(VALU_DEP_1)
	v_lshl_add_u64 v[32:33], v[0:1], 4, s[56:57]
	global_load_b128 v[0:3], v[32:33], off
	s_cbranch_vccnz .LBB66_90
.LBB66_92:                              ;   Parent Loop BB66_4 Depth=1
                                        ;     Parent Loop BB66_91 Depth=2
                                        ; =>    This Inner Loop Header: Depth=3
	s_clause 0x1
	global_load_b64 v[40:41], v5, s[66:67]
	global_load_b64 v[42:43], v5, s[64:65]
	global_load_b128 v[36:39], v[34:35], off
	s_wait_loadcnt 0x3
	v_mov_b64_e32 v[44:45], v[0:1]
	v_mov_b64_e32 v[46:47], v[2:3]
	s_add_co_i32 s69, s69, -1
	s_wait_xcnt 0x2
	s_add_nc_u64 s[66:67], s[66:67], 8
	s_cmp_eq_u32 s69, 0
	s_wait_xcnt 0x1
	s_add_nc_u64 s[64:65], s[64:65], 8
	s_wait_loadcnt 0x2
	v_mul_f64_e32 v[48:49], v[44:45], v[40:41]
	v_mul_f64_e32 v[50:51], v[46:47], v[40:41]
	s_wait_loadcnt 0x0
	v_mul_f64_e32 v[0:1], v[40:41], v[36:37]
	v_mul_f64_e32 v[2:3], v[40:41], v[38:39]
	s_delay_alu instid0(VALU_DEP_4) | instskip(NEXT) | instid1(VALU_DEP_4)
	v_fma_f64 v[36:37], v[42:43], v[36:37], -v[48:49]
	v_fma_f64 v[38:39], v[42:43], v[38:39], -v[50:51]
	s_delay_alu instid0(VALU_DEP_4) | instskip(NEXT) | instid1(VALU_DEP_4)
	v_fmac_f64_e32 v[0:1], v[44:45], v[42:43]
	v_fmac_f64_e32 v[2:3], v[46:47], v[42:43]
	global_store_b128 v[34:35], v[36:39], off
	s_wait_xcnt 0x0
	v_add_nc_u64_e32 v[34:35], 16, v[34:35]
	s_cbranch_scc0 .LBB66_92
	s_branch .LBB66_90
.LBB66_93:                              ;   in Loop: Header=BB66_4 Depth=1
	s_or_b32 exec_lo, exec_lo, s47
.LBB66_94:                              ;   in Loop: Header=BB66_4 Depth=1
	s_mov_b32 s47, 0
.LBB66_95:                              ;   in Loop: Header=BB66_4 Depth=1
	s_delay_alu instid0(SALU_CYCLE_1)
	s_and_not1_b32 vcc_lo, exec_lo, s47
	s_cbranch_vccnz .LBB66_102
; %bb.96:                               ;   in Loop: Header=BB66_4 Depth=1
	s_and_saveexec_b32 s47, s1
	s_cbranch_execz .LBB66_101
; %bb.97:                               ;   in Loop: Header=BB66_4 Depth=1
	v_add_nc_u64_e32 v[28:29], s[58:59], v[14:15]
	v_mov_b32_e32 v30, v4
	s_lshl_b64 s[64:65], s[30:31], 4
	s_mov_b32 s70, 0
	s_add_nc_u64 s[64:65], s[56:57], s[64:65]
	s_branch .LBB66_99
.LBB66_98:                              ;   in Loop: Header=BB66_99 Depth=2
	v_add_nc_u32_e32 v30, s12, v30
	v_add_nc_u64_e32 v[28:29], s[50:51], v[28:29]
	v_lshl_add_u64 v[32:33], v[32:33], 4, s[56:57]
	s_delay_alu instid0(VALU_DEP_3)
	v_cmp_le_i32_e32 vcc_lo, s23, v30
	s_wait_loadcnt 0x0
	global_store_b128 v[32:33], v[0:3], off
	s_or_b32 s70, vcc_lo, s70
	s_wait_xcnt 0x0
	s_and_not1_b32 exec_lo, exec_lo, s70
	s_cbranch_execz .LBB66_101
.LBB66_99:                              ;   Parent Loop BB66_4 Depth=1
                                        ; =>  This Loop Header: Depth=2
                                        ;       Child Loop BB66_100 Depth 3
	v_ashrrev_i32_e32 v31, 31, v30
	v_mov_b64_e32 v[34:35], v[28:29]
	s_and_not1_b32 vcc_lo, exec_lo, s88
	s_mov_b64 s[66:67], s[62:63]
	s_mov_b64 s[68:69], s[60:61]
	v_mul_u64_e32 v[32:33], s[20:21], v[30:31]
	s_mov_b32 s71, s46
	s_delay_alu instid0(VALU_DEP_1)
	v_lshl_add_u64 v[0:1], v[32:33], 4, s[64:65]
	global_load_b128 v[0:3], v[0:1], off offset:-16
	s_cbranch_vccnz .LBB66_98
.LBB66_100:                             ;   Parent Loop BB66_4 Depth=1
                                        ;     Parent Loop BB66_99 Depth=2
                                        ; =>    This Inner Loop Header: Depth=3
	global_load_b128 v[36:39], v[34:35], off
	s_clause 0x1
	global_load_b64 v[40:41], v5, s[66:67]
	global_load_b64 v[42:43], v5, s[68:69]
	s_wait_loadcnt 0x3
	v_mov_b64_e32 v[48:49], v[2:3]
	v_mov_b64_e32 v[50:51], v[0:1]
	s_add_co_i32 s71, s71, -1
	s_wait_xcnt 0x0
	s_add_nc_u64 s[68:69], s[68:69], -8
	s_cmp_eq_u32 s71, 0
	s_add_nc_u64 s[66:67], s[66:67], -8
	s_wait_loadcnt 0x1
	v_mul_f64_e32 v[44:45], v[40:41], v[36:37]
	v_mul_f64_e32 v[46:47], v[40:41], v[38:39]
	s_wait_loadcnt 0x0
	v_mul_f64_e32 v[0:1], v[42:43], v[36:37]
	v_mul_f64_e32 v[2:3], v[42:43], v[38:39]
	s_delay_alu instid0(VALU_DEP_4) | instskip(NEXT) | instid1(VALU_DEP_4)
	v_fma_f64 v[36:37], v[50:51], v[42:43], -v[44:45]
	v_fma_f64 v[38:39], v[48:49], v[42:43], -v[46:47]
	s_delay_alu instid0(VALU_DEP_4) | instskip(NEXT) | instid1(VALU_DEP_4)
	v_fmac_f64_e32 v[0:1], v[50:51], v[40:41]
	v_fmac_f64_e32 v[2:3], v[48:49], v[40:41]
	global_store_b128 v[34:35], v[36:39], off offset:16
	s_wait_xcnt 0x0
	v_add_nc_u64_e32 v[34:35], -16, v[34:35]
	s_cbranch_scc0 .LBB66_100
	s_branch .LBB66_98
.LBB66_101:                             ;   in Loop: Header=BB66_4 Depth=1
	s_or_b32 exec_lo, exec_lo, s47
.LBB66_102:                             ;   in Loop: Header=BB66_4 Depth=1
	s_cbranch_execnz .LBB66_3
.LBB66_103:                             ;   in Loop: Header=BB66_4 Depth=1
	s_and_saveexec_b32 s47, s1
	s_cbranch_execz .LBB66_2
; %bb.104:                              ;   in Loop: Header=BB66_4 Depth=1
	v_add_nc_u64_e32 v[28:29], s[58:59], v[26:27]
	v_mov_b32_e32 v30, v4
	s_lshl_b64 s[58:59], s[30:31], 4
	s_mov_b32 s64, 0
	s_add_nc_u64 s[58:59], s[56:57], s[58:59]
	s_branch .LBB66_106
.LBB66_105:                             ;   in Loop: Header=BB66_106 Depth=2
	v_add_nc_u32_e32 v30, s12, v30
	v_add_nc_u64_e32 v[28:29], s[50:51], v[28:29]
	v_lshl_add_u64 v[32:33], v[32:33], 4, s[58:59]
	s_delay_alu instid0(VALU_DEP_3)
	v_cmp_le_i32_e32 vcc_lo, s23, v30
	s_wait_loadcnt 0x0
	global_store_b128 v[32:33], v[0:3], off offset:-16
	s_or_b32 s64, vcc_lo, s64
	s_wait_xcnt 0x0
	s_and_not1_b32 exec_lo, exec_lo, s64
	s_cbranch_execz .LBB66_2
.LBB66_106:                             ;   Parent Loop BB66_4 Depth=1
                                        ; =>  This Loop Header: Depth=2
                                        ;       Child Loop BB66_107 Depth 3
	v_ashrrev_i32_e32 v31, 31, v30
	v_mov_b64_e32 v[34:35], v[28:29]
	s_and_not1_b32 vcc_lo, exec_lo, s88
	s_mov_b64 s[60:61], s[54:55]
	s_mov_b64 s[62:63], s[52:53]
	v_mul_u64_e32 v[32:33], s[20:21], v[30:31]
	s_mov_b32 s65, s46
	s_delay_alu instid0(VALU_DEP_1)
	v_lshl_add_u64 v[0:1], v[32:33], 4, s[56:57]
	global_load_b128 v[0:3], v[0:1], off
	s_cbranch_vccnz .LBB66_105
.LBB66_107:                             ;   Parent Loop BB66_4 Depth=1
                                        ;     Parent Loop BB66_106 Depth=2
                                        ; =>    This Inner Loop Header: Depth=3
	global_load_b128 v[36:39], v[34:35], off offset:-8
	s_clause 0x1
	global_load_b64 v[44:45], v5, s[62:63]
	global_load_b64 v[46:47], v5, s[60:61]
	s_add_co_i32 s65, s65, -1
	s_wait_xcnt 0x1
	s_add_nc_u64 s[62:63], s[62:63], 8
	s_cmp_eq_u32 s65, 0
	s_wait_xcnt 0x0
	s_add_nc_u64 s[60:61], s[60:61], 8
	s_wait_loadcnt 0x1
	v_mul_f64_e32 v[40:41], v[44:45], v[36:37]
	v_mul_f64_e32 v[42:43], v[44:45], v[38:39]
	;; [unrolled: 1-line block ×4, first 2 shown]
	s_wait_loadcnt 0x0
	s_delay_alu instid0(VALU_DEP_4) | instskip(NEXT) | instid1(VALU_DEP_4)
	v_fmac_f64_e32 v[40:41], v[0:1], v[46:47]
	v_fmac_f64_e32 v[42:43], v[2:3], v[46:47]
	s_delay_alu instid0(VALU_DEP_4) | instskip(NEXT) | instid1(VALU_DEP_4)
	v_fma_f64 v[0:1], v[46:47], v[36:37], -v[48:49]
	v_fma_f64 v[2:3], v[46:47], v[38:39], -v[44:45]
	global_store_b128 v[34:35], v[40:43], off offset:-24
	s_wait_xcnt 0x0
	v_add_nc_u64_e32 v[34:35], 16, v[34:35]
	s_cbranch_scc0 .LBB66_107
	s_branch .LBB66_105
.LBB66_108:
	s_endpgm
	.section	.rodata,"a",@progbits
	.p2align	6, 0x0
	.amdhsa_kernel _ZN9rocsolver6v33100L11lasr_kernelI19rocblas_complex_numIdEdPS3_iEEv13rocblas_side_14rocblas_pivot_15rocblas_direct_T2_S8_PT0_lSA_lT1_lS8_lS8_
		.amdhsa_group_segment_fixed_size 0
		.amdhsa_private_segment_fixed_size 0
		.amdhsa_kernarg_size 352
		.amdhsa_user_sgpr_count 2
		.amdhsa_user_sgpr_dispatch_ptr 0
		.amdhsa_user_sgpr_queue_ptr 0
		.amdhsa_user_sgpr_kernarg_segment_ptr 1
		.amdhsa_user_sgpr_dispatch_id 0
		.amdhsa_user_sgpr_kernarg_preload_length 0
		.amdhsa_user_sgpr_kernarg_preload_offset 0
		.amdhsa_user_sgpr_private_segment_size 0
		.amdhsa_wavefront_size32 1
		.amdhsa_uses_dynamic_stack 0
		.amdhsa_enable_private_segment 0
		.amdhsa_system_sgpr_workgroup_id_x 1
		.amdhsa_system_sgpr_workgroup_id_y 0
		.amdhsa_system_sgpr_workgroup_id_z 1
		.amdhsa_system_sgpr_workgroup_info 0
		.amdhsa_system_vgpr_workitem_id 0
		.amdhsa_next_free_vgpr 54
		.amdhsa_next_free_sgpr 91
		.amdhsa_named_barrier_count 0
		.amdhsa_reserve_vcc 1
		.amdhsa_float_round_mode_32 0
		.amdhsa_float_round_mode_16_64 0
		.amdhsa_float_denorm_mode_32 3
		.amdhsa_float_denorm_mode_16_64 3
		.amdhsa_fp16_overflow 0
		.amdhsa_memory_ordered 1
		.amdhsa_forward_progress 1
		.amdhsa_inst_pref_size 36
		.amdhsa_round_robin_scheduling 0
		.amdhsa_exception_fp_ieee_invalid_op 0
		.amdhsa_exception_fp_denorm_src 0
		.amdhsa_exception_fp_ieee_div_zero 0
		.amdhsa_exception_fp_ieee_overflow 0
		.amdhsa_exception_fp_ieee_underflow 0
		.amdhsa_exception_fp_ieee_inexact 0
		.amdhsa_exception_int_div_zero 0
	.end_amdhsa_kernel
	.section	.text._ZN9rocsolver6v33100L11lasr_kernelI19rocblas_complex_numIdEdPS3_iEEv13rocblas_side_14rocblas_pivot_15rocblas_direct_T2_S8_PT0_lSA_lT1_lS8_lS8_,"axG",@progbits,_ZN9rocsolver6v33100L11lasr_kernelI19rocblas_complex_numIdEdPS3_iEEv13rocblas_side_14rocblas_pivot_15rocblas_direct_T2_S8_PT0_lSA_lT1_lS8_lS8_,comdat
.Lfunc_end66:
	.size	_ZN9rocsolver6v33100L11lasr_kernelI19rocblas_complex_numIdEdPS3_iEEv13rocblas_side_14rocblas_pivot_15rocblas_direct_T2_S8_PT0_lSA_lT1_lS8_lS8_, .Lfunc_end66-_ZN9rocsolver6v33100L11lasr_kernelI19rocblas_complex_numIdEdPS3_iEEv13rocblas_side_14rocblas_pivot_15rocblas_direct_T2_S8_PT0_lSA_lT1_lS8_lS8_
                                        ; -- End function
	.set _ZN9rocsolver6v33100L11lasr_kernelI19rocblas_complex_numIdEdPS3_iEEv13rocblas_side_14rocblas_pivot_15rocblas_direct_T2_S8_PT0_lSA_lT1_lS8_lS8_.num_vgpr, 54
	.set _ZN9rocsolver6v33100L11lasr_kernelI19rocblas_complex_numIdEdPS3_iEEv13rocblas_side_14rocblas_pivot_15rocblas_direct_T2_S8_PT0_lSA_lT1_lS8_lS8_.num_agpr, 0
	.set _ZN9rocsolver6v33100L11lasr_kernelI19rocblas_complex_numIdEdPS3_iEEv13rocblas_side_14rocblas_pivot_15rocblas_direct_T2_S8_PT0_lSA_lT1_lS8_lS8_.numbered_sgpr, 91
	.set _ZN9rocsolver6v33100L11lasr_kernelI19rocblas_complex_numIdEdPS3_iEEv13rocblas_side_14rocblas_pivot_15rocblas_direct_T2_S8_PT0_lSA_lT1_lS8_lS8_.num_named_barrier, 0
	.set _ZN9rocsolver6v33100L11lasr_kernelI19rocblas_complex_numIdEdPS3_iEEv13rocblas_side_14rocblas_pivot_15rocblas_direct_T2_S8_PT0_lSA_lT1_lS8_lS8_.private_seg_size, 0
	.set _ZN9rocsolver6v33100L11lasr_kernelI19rocblas_complex_numIdEdPS3_iEEv13rocblas_side_14rocblas_pivot_15rocblas_direct_T2_S8_PT0_lSA_lT1_lS8_lS8_.uses_vcc, 1
	.set _ZN9rocsolver6v33100L11lasr_kernelI19rocblas_complex_numIdEdPS3_iEEv13rocblas_side_14rocblas_pivot_15rocblas_direct_T2_S8_PT0_lSA_lT1_lS8_lS8_.uses_flat_scratch, 0
	.set _ZN9rocsolver6v33100L11lasr_kernelI19rocblas_complex_numIdEdPS3_iEEv13rocblas_side_14rocblas_pivot_15rocblas_direct_T2_S8_PT0_lSA_lT1_lS8_lS8_.has_dyn_sized_stack, 0
	.set _ZN9rocsolver6v33100L11lasr_kernelI19rocblas_complex_numIdEdPS3_iEEv13rocblas_side_14rocblas_pivot_15rocblas_direct_T2_S8_PT0_lSA_lT1_lS8_lS8_.has_recursion, 0
	.set _ZN9rocsolver6v33100L11lasr_kernelI19rocblas_complex_numIdEdPS3_iEEv13rocblas_side_14rocblas_pivot_15rocblas_direct_T2_S8_PT0_lSA_lT1_lS8_lS8_.has_indirect_call, 0
	.section	.AMDGPU.csdata,"",@progbits
; Kernel info:
; codeLenInByte = 4536
; TotalNumSgprs: 93
; NumVgprs: 54
; ScratchSize: 0
; MemoryBound: 0
; FloatMode: 240
; IeeeMode: 1
; LDSByteSize: 0 bytes/workgroup (compile time only)
; SGPRBlocks: 0
; VGPRBlocks: 3
; NumSGPRsForWavesPerEU: 93
; NumVGPRsForWavesPerEU: 54
; NamedBarCnt: 0
; Occupancy: 16
; WaveLimiterHint : 0
; COMPUTE_PGM_RSRC2:SCRATCH_EN: 0
; COMPUTE_PGM_RSRC2:USER_SGPR: 2
; COMPUTE_PGM_RSRC2:TRAP_HANDLER: 0
; COMPUTE_PGM_RSRC2:TGID_X_EN: 1
; COMPUTE_PGM_RSRC2:TGID_Y_EN: 0
; COMPUTE_PGM_RSRC2:TGID_Z_EN: 1
; COMPUTE_PGM_RSRC2:TIDIG_COMP_CNT: 0
	.section	.text._ZN9rocsolver6v33100L11swap_kernelI19rocblas_complex_numIdEiEEvT0_PT_S4_S6_S4_,"axG",@progbits,_ZN9rocsolver6v33100L11swap_kernelI19rocblas_complex_numIdEiEEvT0_PT_S4_S6_S4_,comdat
	.globl	_ZN9rocsolver6v33100L11swap_kernelI19rocblas_complex_numIdEiEEvT0_PT_S4_S6_S4_ ; -- Begin function _ZN9rocsolver6v33100L11swap_kernelI19rocblas_complex_numIdEiEEvT0_PT_S4_S6_S4_
	.p2align	8
	.type	_ZN9rocsolver6v33100L11swap_kernelI19rocblas_complex_numIdEiEEvT0_PT_S4_S6_S4_,@function
_ZN9rocsolver6v33100L11swap_kernelI19rocblas_complex_numIdEiEEvT0_PT_S4_S6_S4_: ; @_ZN9rocsolver6v33100L11swap_kernelI19rocblas_complex_numIdEiEEvT0_PT_S4_S6_S4_
; %bb.0:
	s_load_b32 s12, s[2:3], 0x0
	s_wait_kmcnt 0x0
	s_cmp_lt_i32 s12, 1
	s_cbranch_scc1 .LBB67_10
; %bb.1:
	s_load_b64 s[14:15], s[0:1], 0x4
	s_clause 0x3
	s_load_b32 s7, s[2:3], 0x34
	s_load_b96 s[4:6], s[2:3], 0x8
	s_load_b32 s11, s[2:3], 0x28
	s_load_b96 s[8:10], s[2:3], 0x18
	s_wait_xcnt 0x0
	s_bfe_u32 s0, ttmp6, 0x4000c
	s_and_b32 s1, ttmp6, 15
	s_add_co_i32 s0, s0, 1
	s_getreg_b32 s2, hwreg(HW_REG_IB_STS2, 6, 4)
	s_mul_i32 s0, ttmp9, s0
	v_and_b32_e32 v1, 0x3ff, v0
	s_add_co_i32 s1, s1, s0
	v_bfe_u32 v3, v0, 10, 10
	v_bfe_u32 v0, v0, 20, 10
	s_wait_kmcnt 0x0
	s_lshr_b32 s0, s14, 16
	s_and_b32 s3, s7, 0xffff
	s_cmp_eq_u32 s2, 0
	s_mul_i32 s0, s0, s15
	s_cselect_b32 s1, ttmp9, s1
	v_mul_lo_u32 v4, s0, v1
	v_mad_u32 v2, s1, s3, v1
	s_cmp_eq_u32 s6, 1
	v_mul_u32_u24_e32 v1, s15, v3
	s_cselect_b32 s0, -1, 0
	s_cmp_eq_u32 s10, 1
	s_mul_i32 s2, s11, s3
	s_cselect_b32 s1, -1, 0
	s_delay_alu instid0(SALU_CYCLE_1) | instskip(NEXT) | instid1(VALU_DEP_3)
	s_and_b32 s1, s0, s1
	v_add3_u32 v6, v4, v1, v0
	s_delay_alu instid0(VALU_DEP_3)
	v_cmp_gt_i32_e64 s0, s12, v2
	s_and_b32 vcc_lo, exec_lo, s1
	s_mov_b32 s1, -1
	s_cbranch_vccnz .LBB67_6
; %bb.2:
	s_and_saveexec_b32 s1, s0
	s_cbranch_execz .LBB67_5
; %bb.3:
	v_dual_ashrrev_i32 v3, 31, v2 :: v_dual_mov_b32 v7, v2
	s_ashr_i32 s7, s6, 31
	s_ashr_i32 s11, s10, 31
	;; [unrolled: 1-line block ×3, first 2 shown]
	s_delay_alu instid0(VALU_DEP_1)
	v_mul_u64_e32 v[0:1], s[10:11], v[2:3]
	v_mul_u64_e32 v[4:5], s[6:7], v[2:3]
	v_lshlrev_b32_e32 v3, 4, v6
	s_mul_u64 s[10:11], s[10:11], s[2:3]
	s_mul_u64 s[14:15], s[6:7], s[2:3]
	s_lshl_b64 s[6:7], s[10:11], 4
	s_lshl_b64 s[10:11], s[14:15], 4
	s_mov_b32 s3, 0
	s_delay_alu instid0(VALU_DEP_3) | instskip(NEXT) | instid1(VALU_DEP_3)
	v_lshl_add_u64 v[0:1], v[0:1], 4, s[8:9]
	v_lshl_add_u64 v[4:5], v[4:5], 4, s[4:5]
.LBB67_4:                               ; =>This Inner Loop Header: Depth=1
	global_load_b128 v[8:11], v[4:5], off
	global_load_b128 v[12:15], v[0:1], off
	v_add_nc_u32_e32 v7, s2, v7
	s_wait_loadcnt 0x1
	global_store_b128 v[0:1], v[8:11], off
	s_wait_loadcnt 0x0
	global_store_b128 v[4:5], v[12:15], off
	v_cmp_le_i32_e32 vcc_lo, s12, v7
	s_wait_xcnt 0x1
	v_add_nc_u64_e32 v[0:1], s[6:7], v[0:1]
	s_wait_xcnt 0x0
	v_add_nc_u64_e32 v[4:5], s[10:11], v[4:5]
	ds_store_2addr_b64 v3, v[12:13], v[14:15] offset1:1
	s_or_b32 s3, vcc_lo, s3
	s_delay_alu instid0(SALU_CYCLE_1)
	s_and_not1_b32 exec_lo, exec_lo, s3
	s_cbranch_execnz .LBB67_4
.LBB67_5:
	s_or_b32 exec_lo, exec_lo, s1
	s_mov_b32 s1, 0
.LBB67_6:
	s_delay_alu instid0(SALU_CYCLE_1)
	s_and_not1_b32 vcc_lo, exec_lo, s1
	s_cbranch_vccnz .LBB67_10
; %bb.7:
	s_and_saveexec_b32 s1, s0
	s_cbranch_execz .LBB67_10
; %bb.8:
	v_ashrrev_i32_e32 v3, 31, v2
	s_ashr_i32 s3, s2, 31
	s_delay_alu instid0(SALU_CYCLE_1) | instskip(SKIP_1) | instid1(VALU_DEP_1)
	s_lshl_b64 s[0:1], s[2:3], 4
	s_mov_b32 s3, 0
	v_lshlrev_b64_e32 v[0:1], 4, v[2:3]
	v_lshl_add_u32 v3, v6, 4, 0x4000
.LBB67_9:                               ; =>This Inner Loop Header: Depth=1
	s_delay_alu instid0(VALU_DEP_2)
	v_add_nc_u64_e32 v[12:13], s[8:9], v[0:1]
	v_add_nc_u64_e32 v[14:15], s[4:5], v[0:1]
	v_add_nc_u32_e32 v2, s2, v2
	v_add_nc_u64_e32 v[0:1], s[0:1], v[0:1]
	global_load_b128 v[4:7], v[12:13], off
	global_load_b128 v[8:11], v[14:15], off
	v_cmp_le_i32_e32 vcc_lo, s12, v2
	s_or_b32 s3, vcc_lo, s3
	s_wait_loadcnt 0x1
	ds_store_2addr_b64 v3, v[4:5], v[6:7] offset1:1
	s_wait_loadcnt 0x0
	global_store_b128 v[12:13], v[8:11], off
	global_store_b128 v[14:15], v[4:7], off
	s_wait_xcnt 0x0
	s_and_not1_b32 exec_lo, exec_lo, s3
	s_cbranch_execnz .LBB67_9
.LBB67_10:
	s_endpgm
	.section	.rodata,"a",@progbits
	.p2align	6, 0x0
	.amdhsa_kernel _ZN9rocsolver6v33100L11swap_kernelI19rocblas_complex_numIdEiEEvT0_PT_S4_S6_S4_
		.amdhsa_group_segment_fixed_size 32768
		.amdhsa_private_segment_fixed_size 0
		.amdhsa_kernarg_size 296
		.amdhsa_user_sgpr_count 4
		.amdhsa_user_sgpr_dispatch_ptr 1
		.amdhsa_user_sgpr_queue_ptr 0
		.amdhsa_user_sgpr_kernarg_segment_ptr 1
		.amdhsa_user_sgpr_dispatch_id 0
		.amdhsa_user_sgpr_kernarg_preload_length 0
		.amdhsa_user_sgpr_kernarg_preload_offset 0
		.amdhsa_user_sgpr_private_segment_size 0
		.amdhsa_wavefront_size32 1
		.amdhsa_uses_dynamic_stack 0
		.amdhsa_enable_private_segment 0
		.amdhsa_system_sgpr_workgroup_id_x 1
		.amdhsa_system_sgpr_workgroup_id_y 0
		.amdhsa_system_sgpr_workgroup_id_z 0
		.amdhsa_system_sgpr_workgroup_info 0
		.amdhsa_system_vgpr_workitem_id 2
		.amdhsa_next_free_vgpr 16
		.amdhsa_next_free_sgpr 16
		.amdhsa_named_barrier_count 0
		.amdhsa_reserve_vcc 1
		.amdhsa_float_round_mode_32 0
		.amdhsa_float_round_mode_16_64 0
		.amdhsa_float_denorm_mode_32 3
		.amdhsa_float_denorm_mode_16_64 3
		.amdhsa_fp16_overflow 0
		.amdhsa_memory_ordered 1
		.amdhsa_forward_progress 1
		.amdhsa_inst_pref_size 5
		.amdhsa_round_robin_scheduling 0
		.amdhsa_exception_fp_ieee_invalid_op 0
		.amdhsa_exception_fp_denorm_src 0
		.amdhsa_exception_fp_ieee_div_zero 0
		.amdhsa_exception_fp_ieee_overflow 0
		.amdhsa_exception_fp_ieee_underflow 0
		.amdhsa_exception_fp_ieee_inexact 0
		.amdhsa_exception_int_div_zero 0
	.end_amdhsa_kernel
	.section	.text._ZN9rocsolver6v33100L11swap_kernelI19rocblas_complex_numIdEiEEvT0_PT_S4_S6_S4_,"axG",@progbits,_ZN9rocsolver6v33100L11swap_kernelI19rocblas_complex_numIdEiEEvT0_PT_S4_S6_S4_,comdat
.Lfunc_end67:
	.size	_ZN9rocsolver6v33100L11swap_kernelI19rocblas_complex_numIdEiEEvT0_PT_S4_S6_S4_, .Lfunc_end67-_ZN9rocsolver6v33100L11swap_kernelI19rocblas_complex_numIdEiEEvT0_PT_S4_S6_S4_
                                        ; -- End function
	.set _ZN9rocsolver6v33100L11swap_kernelI19rocblas_complex_numIdEiEEvT0_PT_S4_S6_S4_.num_vgpr, 16
	.set _ZN9rocsolver6v33100L11swap_kernelI19rocblas_complex_numIdEiEEvT0_PT_S4_S6_S4_.num_agpr, 0
	.set _ZN9rocsolver6v33100L11swap_kernelI19rocblas_complex_numIdEiEEvT0_PT_S4_S6_S4_.numbered_sgpr, 16
	.set _ZN9rocsolver6v33100L11swap_kernelI19rocblas_complex_numIdEiEEvT0_PT_S4_S6_S4_.num_named_barrier, 0
	.set _ZN9rocsolver6v33100L11swap_kernelI19rocblas_complex_numIdEiEEvT0_PT_S4_S6_S4_.private_seg_size, 0
	.set _ZN9rocsolver6v33100L11swap_kernelI19rocblas_complex_numIdEiEEvT0_PT_S4_S6_S4_.uses_vcc, 1
	.set _ZN9rocsolver6v33100L11swap_kernelI19rocblas_complex_numIdEiEEvT0_PT_S4_S6_S4_.uses_flat_scratch, 0
	.set _ZN9rocsolver6v33100L11swap_kernelI19rocblas_complex_numIdEiEEvT0_PT_S4_S6_S4_.has_dyn_sized_stack, 0
	.set _ZN9rocsolver6v33100L11swap_kernelI19rocblas_complex_numIdEiEEvT0_PT_S4_S6_S4_.has_recursion, 0
	.set _ZN9rocsolver6v33100L11swap_kernelI19rocblas_complex_numIdEiEEvT0_PT_S4_S6_S4_.has_indirect_call, 0
	.section	.AMDGPU.csdata,"",@progbits
; Kernel info:
; codeLenInByte = 592
; TotalNumSgprs: 18
; NumVgprs: 16
; ScratchSize: 0
; MemoryBound: 0
; FloatMode: 240
; IeeeMode: 1
; LDSByteSize: 32768 bytes/workgroup (compile time only)
; SGPRBlocks: 0
; VGPRBlocks: 0
; NumSGPRsForWavesPerEU: 18
; NumVGPRsForWavesPerEU: 16
; NamedBarCnt: 0
; Occupancy: 16
; WaveLimiterHint : 0
; COMPUTE_PGM_RSRC2:SCRATCH_EN: 0
; COMPUTE_PGM_RSRC2:USER_SGPR: 4
; COMPUTE_PGM_RSRC2:TRAP_HANDLER: 0
; COMPUTE_PGM_RSRC2:TGID_X_EN: 1
; COMPUTE_PGM_RSRC2:TGID_Y_EN: 0
; COMPUTE_PGM_RSRC2:TGID_Z_EN: 0
; COMPUTE_PGM_RSRC2:TIDIG_COMP_CNT: 2
	.section	.text._ZN9rocsolver6v33100L12steqr_kernelI19rocblas_complex_numIdEdPS3_EEviPT0_lS6_lT1_iilPiS6_iS5_S5_S5_,"axG",@progbits,_ZN9rocsolver6v33100L12steqr_kernelI19rocblas_complex_numIdEdPS3_EEviPT0_lS6_lT1_iilPiS6_iS5_S5_S5_,comdat
	.globl	_ZN9rocsolver6v33100L12steqr_kernelI19rocblas_complex_numIdEdPS3_EEviPT0_lS6_lT1_iilPiS6_iS5_S5_S5_ ; -- Begin function _ZN9rocsolver6v33100L12steqr_kernelI19rocblas_complex_numIdEdPS3_EEviPT0_lS6_lT1_iilPiS6_iS5_S5_S5_
	.p2align	8
	.type	_ZN9rocsolver6v33100L12steqr_kernelI19rocblas_complex_numIdEdPS3_EEviPT0_lS6_lT1_iilPiS6_iS5_S5_S5_,@function
_ZN9rocsolver6v33100L12steqr_kernelI19rocblas_complex_numIdEdPS3_EEviPT0_lS6_lT1_iilPiS6_iS5_S5_S5_: ; @_ZN9rocsolver6v33100L12steqr_kernelI19rocblas_complex_numIdEdPS3_EEviPT0_lS6_lT1_iilPiS6_iS5_S5_S5_
; %bb.0:
	s_clause 0x1
	s_load_b32 s4, s[2:3], 0x7c
	s_load_b32 s7, s[2:3], 0x70
	s_bfe_u32 s5, ttmp6, 0x4000c
	s_and_b32 s6, ttmp6, 15
	s_add_co_i32 s8, s5, 1
	s_getreg_b32 s5, hwreg(HW_REG_IB_STS2, 6, 4)
	s_mul_i32 s8, ttmp9, s8
	v_and_b32_e32 v1, 0x3ff, v0
	s_add_co_i32 s6, s6, s8
	s_wait_kmcnt 0x0
	s_and_b32 s24, s4, 0xffff
	s_cmp_eq_u32 s5, 0
	s_cselect_b32 s4, ttmp9, s6
	s_delay_alu instid0(SALU_CYCLE_1) | instskip(NEXT) | instid1(VALU_DEP_1)
	v_mad_u32 v6, s4, s24, v1
	v_cmp_eq_u32_e64 s4, 0, v6
	s_and_saveexec_b32 s6, s4
; %bb.1:
	v_mov_b32_e32 v2, 0
	ds_store_2addr_b32 v2, v2, v2 offset0:6 offset1:9
; %bb.2:
	s_or_b32 exec_lo, exec_lo, s6
	v_mov_b32_e32 v60, 0
	s_load_b32 s6, s[2:3], 0x0
	s_wait_dscnt 0x0
	s_barrier_signal -1
	s_barrier_wait -1
	ds_load_2addr_b32 v[2:3], v60 offset0:6 offset1:9
	s_clause 0x2
	s_load_b96 s[28:30], s[2:3], 0x48
	s_load_b256 s[16:23], s[2:3], 0x8
	s_load_b256 s[8:15], s[2:3], 0x28
	s_bfe_u32 s25, ttmp6, 0x40010
	s_bfe_u32 s26, ttmp6, 0x40004
	s_add_co_i32 s25, s25, 1
	s_mul_i32 s36, s7, s24
	s_mul_i32 s25, ttmp7, s25
	s_delay_alu instid0(SALU_CYCLE_1) | instskip(SKIP_2) | instid1(SALU_CYCLE_1)
	s_add_co_i32 s26, s26, s25
	s_cmp_eq_u32 s5, 0
	s_cselect_b32 s40, ttmp7, s26
	s_ashr_i32 s41, s40, 31
	s_wait_kmcnt 0x0
	s_add_co_i32 s38, s6, -1
	s_wait_dscnt 0x0
	v_cmp_gt_i32_e32 vcc_lo, s6, v2
	v_cmp_gt_i32_e64 s5, s30, v3
	s_mul_u64 s[18:19], s[18:19], s[40:41]
	v_readfirstlane_b32 s78, v2
	s_lshl_b64 s[34:35], s[18:19], 3
	s_mul_u64 s[42:43], s[22:23], s[40:41]
	s_and_b32 s5, vcc_lo, s5
	s_add_nc_u64 s[18:19], s[16:17], s[34:35]
	s_ashr_i32 s23, s10, 31
	s_mov_b32 s22, s10
	s_mul_u64 s[12:13], s[12:13], s[40:41]
	s_and_not1_b32 vcc_lo, exec_lo, s5
	s_cbranch_vccnz .LBB68_231
; %bb.3:
	s_clause 0x1
	s_load_b128 s[24:27], s[2:3], 0x58
	s_load_b64 s[44:45], s[2:3], 0x68
	s_wait_xcnt 0x0
	s_lshl_b64 s[2:3], s[42:43], 3
	s_lshl_b64 s[60:61], s[12:13], 4
	;; [unrolled: 1-line block ×3, first 2 shown]
	v_ashrrev_i32_e32 v7, 31, v6
	s_add_nc_u64 s[46:47], s[20:21], s[2:3]
	s_add_nc_u64 s[2:3], s[8:9], s[60:61]
	;; [unrolled: 1-line block ×3, first 2 shown]
	s_lshl_b32 s48, s6, 1
	s_add_nc_u64 s[60:61], s[8:9], s[60:61]
	s_ashr_i32 s49, s48, 31
	v_lshl_add_u64 v[2:3], v[6:7], 4, s[60:61]
	s_mul_u64 s[48:49], s[48:49], s[40:41]
	s_ashr_i32 s7, s6, 31
	s_lshl_b64 s[64:65], s[48:49], 3
	s_lshl_b64 s[66:67], s[6:7], 3
	v_add_nc_u64_e32 v[10:11], 8, v[2:3]
	v_mov_b64_e32 v[12:13], 0
	s_add_nc_u64 s[48:49], s[2:3], s[62:63]
	s_wait_kmcnt 0x0
	v_mul_f64_e64 v[8:9], s[24:25], s[24:25]
	s_ashr_i32 s53, s11, 31
	s_mov_b32 s52, s11
	s_add_nc_u64 s[62:63], s[64:65], s[66:67]
	v_cmp_gt_i32_e64 s2, s6, v6
	s_add_nc_u64 s[50:51], s[28:29], s[64:65]
	s_add_nc_u64 s[54:55], s[16:17], s[34:35]
	s_ashr_i32 s37, s36, 31
	s_add_nc_u64 s[28:29], s[28:29], s[62:63]
	s_lshl_b64 s[68:69], s[52:53], 4
	s_add_nc_u64 s[56:57], s[54:55], 8
	s_lshl_b64 s[58:59], s[36:37], 3
	s_add_nc_u64 s[28:29], s[28:29], -16
	s_add_nc_u64 s[60:61], s[50:51], -8
	s_add_nc_u64 s[62:63], s[46:47], -8
	s_add_nc_u64 s[64:65], s[66:67], -8
	s_mov_b64 s[66:67], 0x3ff6a09e667f3bcd
	s_lshl_b64 s[70:71], s[36:37], 4
	s_sub_nc_u64 s[72:73], 0, s[68:69]
	s_add_nc_u64 s[74:75], s[54:55], -8
	s_mov_b32 s77, 0
                                        ; implicit-def: $vgpr62
                                        ; implicit-def: $vgpr22_vgpr23
                                        ; implicit-def: $vgpr24_vgpr25
                                        ; implicit-def: $vgpr26_vgpr27
                                        ; implicit-def: $vgpr14_vgpr15
                                        ; implicit-def: $vgpr61
                                        ; implicit-def: $vgpr20_vgpr21
                                        ; implicit-def: $vgpr7
                                        ; implicit-def: $vgpr16_vgpr17
                                        ; implicit-def: $vgpr18_vgpr19
	s_branch .LBB68_7
.LBB68_4:                               ;   in Loop: Header=BB68_7 Depth=1
	s_or_b32 exec_lo, exec_lo, s3
.LBB68_5:                               ;   in Loop: Header=BB68_7 Depth=1
	s_wait_storecnt 0x0
	s_barrier_signal -1
	s_barrier_wait -1
.LBB68_6:                               ;   in Loop: Header=BB68_7 Depth=1
	ds_load_2addr_b32 v[2:3], v60 offset0:6 offset1:9
	s_wait_dscnt 0x0
	v_cmp_gt_i32_e32 vcc_lo, s6, v2
	v_cmp_gt_i32_e64 s3, s30, v3
	v_readfirstlane_b32 s78, v2
	s_and_b32 s3, vcc_lo, s3
	s_delay_alu instid0(SALU_CYCLE_1)
	s_and_not1_b32 vcc_lo, exec_lo, s3
	s_cbranch_vccnz .LBB68_231
.LBB68_7:                               ; =>This Loop Header: Depth=1
                                        ;     Child Loop BB68_15 Depth 2
                                        ;     Child Loop BB68_28 Depth 2
	;; [unrolled: 1-line block ×5, first 2 shown]
                                        ;       Child Loop BB68_157 Depth 3
                                        ;       Child Loop BB68_177 Depth 3
	;; [unrolled: 1-line block ×3, first 2 shown]
                                        ;         Child Loop BB68_229 Depth 4
                                        ;     Child Loop BB68_68 Depth 2
                                        ;       Child Loop BB68_75 Depth 3
                                        ;       Child Loop BB68_95 Depth 3
	;; [unrolled: 1-line block ×3, first 2 shown]
                                        ;         Child Loop BB68_147 Depth 4
                                        ;     Child Loop BB68_58 Depth 2
                                        ;     Child Loop BB68_65 Depth 2
	s_and_saveexec_b32 s5, s4
	s_cbranch_execz .LBB68_31
; %bb.8:                                ;   in Loop: Header=BB68_7 Depth=1
	s_cmp_lt_i32 s78, 1
	s_cbranch_scc1 .LBB68_10
; %bb.9:                                ;   in Loop: Header=BB68_7 Depth=1
	v_mov_b32_e32 v2, s78
	global_store_b64 v2, v[12:13], s[46:47] offset:-8 scale_offset
.LBB68_10:                              ;   in Loop: Header=BB68_7 Depth=1
	s_mov_b32 s31, -1
	s_mov_b32 s3, 0
	s_cmp_lt_i32 s78, s38
	s_mov_b32 s10, 0
	s_cbranch_scc1 .LBB68_12
; %bb.11:                               ;   in Loop: Header=BB68_7 Depth=1
	s_ashr_i32 s79, s78, 31
	s_mov_b32 s31, 0
	s_mov_b32 s10, -1
.LBB68_12:                              ;   in Loop: Header=BB68_7 Depth=1
	s_and_not1_b32 vcc_lo, exec_lo, s31
	s_cbranch_vccnz .LBB68_17
; %bb.13:                               ;   in Loop: Header=BB68_7 Depth=1
	s_ashr_i32 s79, s78, 31
	s_delay_alu instid0(SALU_CYCLE_1)
	s_lshl_b64 s[80:81], s[78:79], 3
	s_mov_b64 s[82:83], s[78:79]
	s_add_nc_u64 s[86:87], s[46:47], s[80:81]
	s_add_nc_u64 s[80:81], s[56:57], s[80:81]
	s_branch .LBB68_15
.LBB68_14:                              ;   in Loop: Header=BB68_15 Depth=2
	s_and_not1_b32 vcc_lo, exec_lo, s31
	s_cbranch_vccz .LBB68_18
.LBB68_15:                              ;   Parent Loop BB68_7 Depth=1
                                        ; =>  This Inner Loop Header: Depth=2
	s_clause 0x1
	global_load_b128 v[2:5], v60, s[80:81] offset:-8
	global_load_b64 v[30:31], v60, s[86:87]
	s_mov_b64 s[84:85], s[86:87]
	s_mov_b64 s[88:89], s[82:83]
                                        ; implicit-def: $sgpr82_sgpr83
                                        ; implicit-def: $sgpr86_sgpr87
	s_wait_loadcnt 0x1
	v_cmp_gt_f64_e64 s3, 0x10000000, |v[2:3]|
	v_cmp_gt_f64_e64 s31, 0x10000000, |v[4:5]|
	s_and_b32 s3, s3, exec_lo
	s_cselect_b32 s3, 0x100, 0
	s_cselect_b32 s33, 0xffffff80, 0
	s_and_b32 s31, s31, exec_lo
	s_cselect_b32 s31, 0x100, 0
	v_ldexp_f64 v[2:3], |v[2:3]|, s3
	v_ldexp_f64 v[4:5], |v[4:5]|, s31
	s_cselect_b32 s3, 0xffffff80, 0
	s_delay_alu instid0(VALU_DEP_2) | instskip(NEXT) | instid1(VALU_DEP_2)
	v_cmp_class_f64_e64 vcc_lo, v[2:3], 0x260
	v_rsq_f64_e32 v[24:25], v[4:5]
	v_rsq_f64_e32 v[22:23], v[2:3]
	s_delay_alu instid0(TRANS32_DEP_2) | instskip(SKIP_1) | instid1(VALU_DEP_1)
	v_mul_f64_e32 v[28:29], v[4:5], v[24:25]
	v_mul_f64_e32 v[24:25], 0.5, v[24:25]
	v_fma_f64 v[34:35], -v[24:25], v[28:29], 0.5
	s_delay_alu instid0(VALU_DEP_1) | instskip(SKIP_1) | instid1(VALU_DEP_2)
	v_fmac_f64_e32 v[28:29], v[28:29], v[34:35]
	v_fmac_f64_e32 v[24:25], v[24:25], v[34:35]
	v_fma_f64 v[34:35], -v[28:29], v[28:29], v[4:5]
	s_delay_alu instid0(VALU_DEP_1) | instskip(NEXT) | instid1(VALU_DEP_1)
	v_fmac_f64_e32 v[28:29], v[34:35], v[24:25]
	v_fma_f64 v[34:35], -v[28:29], v[28:29], v[4:5]
	s_delay_alu instid0(VALU_DEP_1) | instskip(NEXT) | instid1(VALU_DEP_1)
	v_fmac_f64_e32 v[28:29], v[34:35], v[24:25]
	v_ldexp_f64 v[24:25], v[28:29], s3
	v_cmp_class_f64_e64 s3, v[4:5], 0x260
	s_delay_alu instid0(TRANS32_DEP_1) | instskip(NEXT) | instid1(VALU_DEP_2)
	v_mul_f64_e32 v[26:27], v[2:3], v[22:23]
	v_dual_mul_f64 v[22:23], 0.5, v[22:23] :: v_dual_cndmask_b32 v4, v24, v4, s3
	s_delay_alu instid0(VALU_DEP_4) | instskip(NEXT) | instid1(VALU_DEP_2)
	v_cndmask_b32_e64 v5, v25, v5, s3
	v_fma_f64 v[32:33], -v[22:23], v[26:27], 0.5
	s_mov_b32 s3, -1
	s_delay_alu instid0(VALU_DEP_1) | instskip(SKIP_1) | instid1(VALU_DEP_2)
	v_fmac_f64_e32 v[26:27], v[26:27], v[32:33]
	v_fmac_f64_e32 v[22:23], v[22:23], v[32:33]
	v_fma_f64 v[32:33], -v[26:27], v[26:27], v[2:3]
	s_delay_alu instid0(VALU_DEP_1) | instskip(NEXT) | instid1(VALU_DEP_1)
	v_fmac_f64_e32 v[26:27], v[32:33], v[22:23]
	v_fma_f64 v[32:33], -v[26:27], v[26:27], v[2:3]
	s_delay_alu instid0(VALU_DEP_1) | instskip(NEXT) | instid1(VALU_DEP_1)
	v_fmac_f64_e32 v[26:27], v[32:33], v[22:23]
	v_ldexp_f64 v[22:23], v[26:27], s33
	s_delay_alu instid0(VALU_DEP_1) | instskip(NEXT) | instid1(VALU_DEP_1)
	v_dual_cndmask_b32 v3, v23, v3 :: v_dual_cndmask_b32 v2, v22, v2
	v_mul_f64_e32 v[2:3], v[2:3], v[4:5]
	s_delay_alu instid0(VALU_DEP_1) | instskip(SKIP_1) | instid1(VALU_DEP_1)
	v_mul_f64_e32 v[2:3], s[24:25], v[2:3]
	s_wait_loadcnt 0x0
	v_cmp_nle_f64_e64 s31, |v[30:31]|, v[2:3]
	s_and_b32 vcc_lo, exec_lo, s31
	s_mov_b32 s31, -1
	s_cbranch_vccz .LBB68_14
; %bb.16:                               ;   in Loop: Header=BB68_15 Depth=2
	s_add_nc_u64 s[82:83], s[88:89], 1
	s_wait_xcnt 0x0
	s_add_nc_u64 s[86:87], s[84:85], 8
	s_cmp_ge_i32 s82, s38
	s_add_nc_u64 s[80:81], s[80:81], 8
	s_mov_b32 s3, 0
	s_cselect_b32 s31, -1, 0
	s_branch .LBB68_14
.LBB68_17:                              ;   in Loop: Header=BB68_7 Depth=1
	s_mov_b32 s31, s78
	s_mov_b64 s[80:81], s[78:79]
	s_and_b32 vcc_lo, exec_lo, s10
	s_cbranch_vccnz .LBB68_21
	s_branch .LBB68_22
.LBB68_18:                              ;   in Loop: Header=BB68_7 Depth=1
	s_xor_b32 s3, s3, -1
                                        ; implicit-def: $sgpr80_sgpr81
	s_delay_alu instid0(SALU_CYCLE_1)
	s_and_b32 vcc_lo, exec_lo, s3
	s_mov_b32 s3, -1
	s_cbranch_vccz .LBB68_20
; %bb.19:                               ;   in Loop: Header=BB68_7 Depth=1
	s_ashr_i32 s39, s38, 31
	s_mov_b32 s10, -1
	s_mov_b32 s3, 0
	s_wait_xcnt 0x1
	s_mov_b64 s[80:81], s[38:39]
.LBB68_20:                              ;   in Loop: Header=BB68_7 Depth=1
	v_mov_b64_e32 v[22:23], s[88:89]
	v_mov_b64_e32 v[24:25], s[84:85]
	;; [unrolled: 1-line block ×3, first 2 shown]
	v_mov_b32_e32 v62, s88
	s_mov_b32 s31, s38
	s_and_b32 vcc_lo, exec_lo, s10
	s_cbranch_vccz .LBB68_22
.LBB68_21:                              ;   in Loop: Header=BB68_7 Depth=1
	s_wait_xcnt 0x0
	v_mov_b32_e32 v2, s31
	ds_store_b32 v60, v2 offset:20
.LBB68_22:                              ;   in Loop: Header=BB68_7 Depth=1
	v_mov_b64_e32 v[4:5], s[78:79]
	s_wait_xcnt 0x0
	v_mov_b64_e32 v[2:3], s[80:81]
	v_mov_b32_e32 v30, s31
	s_and_not1_b32 vcc_lo, exec_lo, s3
	s_cbranch_vccnz .LBB68_24
; %bb.23:                               ;   in Loop: Header=BB68_7 Depth=1
	v_mov_b64_e32 v[4:5], v[26:27]
	v_mov_b64_e32 v[2:3], v[22:23]
	v_mov_b32_e32 v30, v62
	ds_store_b32 v60, v62 offset:20
	global_store_b64 v[24:25], v[12:13], off
.LBB68_24:                              ;   in Loop: Header=BB68_7 Depth=1
	s_delay_alu instid0(VALU_DEP_2)
	v_lshl_add_u64 v[2:3], v[2:3], 3, s[18:19]
	v_lshl_add_u64 v[28:29], v[4:5], 3, s[18:19]
	s_clause 0x1
	global_load_b64 v[2:3], v[2:3], off
	global_load_b64 v[28:29], v[28:29], off
	s_wait_loadcnt 0x0
	v_cmp_lt_f64_e64 s10, |v[2:3]|, |v[28:29]|
	s_wait_xcnt 0x0
	v_dual_mov_b32 v29, s78 :: v_dual_add_nc_u32 v28, 1, v30
	ds_store_2addr_b32 v60, v30, v30 offset0:8 offset1:10
	ds_store_b32 v60, v29 offset:16
	ds_store_b64 v60, v[28:29] offset:24
	s_and_saveexec_b32 s3, s10
; %bb.25:                               ;   in Loop: Header=BB68_7 Depth=1
	v_mov_b32_e32 v28, s78
	ds_store_2addr_b32 v60, v30, v28 offset0:4 offset1:8
; %bb.26:                               ;   in Loop: Header=BB68_7 Depth=1
	s_or_b32 exec_lo, exec_lo, s3
	v_and_b32_e32 v3, 0x7fffffff, v3
	s_mov_b32 s3, exec_lo
	v_cmpx_lt_i32_e64 s78, v30
	s_cbranch_execz .LBB68_30
; %bb.27:                               ;   in Loop: Header=BB68_7 Depth=1
	v_lshlrev_b64_e32 v[28:29], 3, v[4:5]
	s_mov_b32 s10, 0
	s_delay_alu instid0(VALU_DEP_1)
	v_add_nc_u64_e32 v[4:5], s[54:55], v[28:29]
	v_add_nc_u64_e32 v[28:29], s[46:47], v[28:29]
.LBB68_28:                              ;   Parent Loop BB68_7 Depth=1
                                        ; =>  This Inner Loop Header: Depth=2
	global_load_b64 v[32:33], v[28:29], off
	global_load_b64 v[34:35], v[4:5], off
	v_max_num_f64_e32 v[2:3], v[2:3], v[2:3]
	s_add_co_i32 s78, s78, 1
	s_wait_xcnt 0x0
	v_add_nc_u64_e32 v[4:5], 8, v[4:5]
	v_cmp_ge_i32_e32 vcc_lo, s78, v30
	v_add_nc_u64_e32 v[28:29], 8, v[28:29]
	s_or_b32 s10, vcc_lo, s10
	s_wait_loadcnt 0x1
	v_max_num_f64_e64 v[32:33], |v[32:33]|, |v[32:33]|
	s_wait_loadcnt 0x0
	v_max_num_f64_e64 v[34:35], |v[34:35]|, |v[34:35]|
	s_delay_alu instid0(VALU_DEP_1) | instskip(NEXT) | instid1(VALU_DEP_1)
	v_max_num_f64_e32 v[32:33], v[34:35], v[32:33]
	v_max_num_f64_e32 v[2:3], v[2:3], v[32:33]
	s_and_not1_b32 exec_lo, exec_lo, s10
	s_cbranch_execnz .LBB68_28
; %bb.29:                               ;   in Loop: Header=BB68_7 Depth=1
	s_or_b32 exec_lo, exec_lo, s10
.LBB68_30:                              ;   in Loop: Header=BB68_7 Depth=1
	s_delay_alu instid0(SALU_CYCLE_1)
	s_or_b32 exec_lo, exec_lo, s3
	ds_store_b64 v60, v[2:3] offset:8
.LBB68_31:                              ;   in Loop: Header=BB68_7 Depth=1
	s_or_b32 exec_lo, exec_lo, s5
	s_wait_storecnt_dscnt 0x0
	s_barrier_signal -1
	s_barrier_wait -1
	ds_load_b64 v[2:3], v60 offset:8
	ds_load_2addr_b32 v[4:5], v60 offset0:4 offset1:8
	s_wait_dscnt 0x1
	v_cmp_eq_f64_e32 vcc_lo, 0, v[2:3]
	s_wait_dscnt 0x0
	v_cmp_eq_u32_e64 s3, v5, v4
	s_or_b32 s3, s3, vcc_lo
	s_delay_alu instid0(SALU_CYCLE_1)
	s_and_b32 vcc_lo, exec_lo, s3
	s_cbranch_vccnz .LBB68_6
; %bb.32:                               ;   in Loop: Header=BB68_7 Depth=1
	v_cmp_nlt_f64_e32 vcc_lo, s[44:45], v[2:3]
	s_mov_b32 s3, -1
	s_cbranch_vccz .LBB68_41
; %bb.33:                               ;   in Loop: Header=BB68_7 Depth=1
	v_cmp_ngt_f64_e32 vcc_lo, s[26:27], v[2:3]
	s_cbranch_vccnz .LBB68_40
; %bb.34:                               ;   in Loop: Header=BB68_7 Depth=1
	v_div_scale_f64 v[4:5], null, s[26:27], s[26:27], v[2:3]
	s_delay_alu instid0(VALU_DEP_1) | instskip(SKIP_1) | instid1(TRANS32_DEP_1)
	v_rcp_f64_e32 v[28:29], v[4:5]
	v_nop
	v_fma_f64 v[30:31], -v[4:5], v[28:29], 1.0
	s_delay_alu instid0(VALU_DEP_1) | instskip(NEXT) | instid1(VALU_DEP_1)
	v_fmac_f64_e32 v[28:29], v[28:29], v[30:31]
	v_fma_f64 v[30:31], -v[4:5], v[28:29], 1.0
	s_delay_alu instid0(VALU_DEP_1) | instskip(SKIP_1) | instid1(VALU_DEP_1)
	v_fmac_f64_e32 v[28:29], v[28:29], v[30:31]
	v_div_scale_f64 v[30:31], vcc_lo, v[2:3], s[26:27], v[2:3]
	v_mul_f64_e32 v[32:33], v[30:31], v[28:29]
	s_delay_alu instid0(VALU_DEP_1) | instskip(NEXT) | instid1(VALU_DEP_1)
	v_fma_f64 v[4:5], -v[4:5], v[32:33], v[30:31]
	v_div_fmas_f64 v[4:5], v[4:5], v[28:29], v[32:33]
	ds_load_2addr_b32 v[28:29], v60 offset0:7 offset1:10
	v_div_fixup_f64 v[4:5], v[4:5], s[26:27], v[2:3]
	s_and_saveexec_b32 s3, s4
	s_cbranch_execz .LBB68_36
; %bb.35:                               ;   in Loop: Header=BB68_7 Depth=1
	s_wait_dscnt 0x0
	global_load_b64 v[30:31], v29, s[18:19] scale_offset
	s_wait_loadcnt 0x0
	v_mul_f64_e32 v[30:31], v[4:5], v[30:31]
	global_store_b64 v29, v[30:31], s[18:19] scale_offset
.LBB68_36:                              ;   in Loop: Header=BB68_7 Depth=1
	s_wait_xcnt 0x0
	s_or_b32 exec_lo, exec_lo, s3
	s_wait_dscnt 0x0
	v_add_nc_u32_e32 v30, v28, v6
	s_mov_b32 s3, exec_lo
	s_delay_alu instid0(VALU_DEP_1)
	v_cmpx_lt_i32_e64 v30, v29
	s_cbranch_execz .LBB68_39
; %bb.37:                               ;   in Loop: Header=BB68_7 Depth=1
	v_ashrrev_i32_e32 v31, 31, v30
	s_mov_b32 s5, 0
	s_delay_alu instid0(VALU_DEP_1)
	v_lshlrev_b64_e32 v[32:33], 3, v[30:31]
.LBB68_38:                              ;   Parent Loop BB68_7 Depth=1
                                        ; =>  This Inner Loop Header: Depth=2
	s_delay_alu instid0(VALU_DEP_1)
	v_add_nc_u64_e32 v[34:35], s[18:19], v[32:33]
	v_add_nc_u64_e32 v[38:39], s[46:47], v[32:33]
	;; [unrolled: 1-line block ×3, first 2 shown]
	v_add_nc_u32_e32 v30, s36, v30
	global_load_b64 v[36:37], v[34:35], off
	v_cmp_ge_i32_e32 vcc_lo, v30, v29
	s_or_b32 s5, vcc_lo, s5
	s_wait_loadcnt 0x0
	v_mul_f64_e32 v[36:37], v[4:5], v[36:37]
	global_store_b64 v[34:35], v[36:37], off
	global_load_b64 v[34:35], v[38:39], off
	s_wait_loadcnt 0x0
	v_mul_f64_e32 v[34:35], v[4:5], v[34:35]
	global_store_b64 v[38:39], v[34:35], off
	s_wait_xcnt 0x0
	s_and_not1_b32 exec_lo, exec_lo, s5
	s_cbranch_execnz .LBB68_38
.LBB68_39:                              ;   in Loop: Header=BB68_7 Depth=1
	s_or_b32 exec_lo, exec_lo, s3
.LBB68_40:                              ;   in Loop: Header=BB68_7 Depth=1
	s_mov_b32 s3, 0
.LBB68_41:                              ;   in Loop: Header=BB68_7 Depth=1
	s_delay_alu instid0(SALU_CYCLE_1)
	s_and_not1_b32 vcc_lo, exec_lo, s3
	s_cbranch_vccnz .LBB68_48
; %bb.42:                               ;   in Loop: Header=BB68_7 Depth=1
	v_div_scale_f64 v[4:5], null, s[44:45], s[44:45], v[2:3]
	s_delay_alu instid0(VALU_DEP_1) | instskip(SKIP_1) | instid1(TRANS32_DEP_1)
	v_rcp_f64_e32 v[28:29], v[4:5]
	v_nop
	v_fma_f64 v[30:31], -v[4:5], v[28:29], 1.0
	s_delay_alu instid0(VALU_DEP_1) | instskip(NEXT) | instid1(VALU_DEP_1)
	v_fmac_f64_e32 v[28:29], v[28:29], v[30:31]
	v_fma_f64 v[30:31], -v[4:5], v[28:29], 1.0
	s_delay_alu instid0(VALU_DEP_1) | instskip(SKIP_1) | instid1(VALU_DEP_1)
	v_fmac_f64_e32 v[28:29], v[28:29], v[30:31]
	v_div_scale_f64 v[30:31], vcc_lo, v[2:3], s[44:45], v[2:3]
	v_mul_f64_e32 v[32:33], v[30:31], v[28:29]
	s_delay_alu instid0(VALU_DEP_1) | instskip(NEXT) | instid1(VALU_DEP_1)
	v_fma_f64 v[4:5], -v[4:5], v[32:33], v[30:31]
	v_div_fmas_f64 v[4:5], v[4:5], v[28:29], v[32:33]
	s_delay_alu instid0(VALU_DEP_1)
	v_div_fixup_f64 v[2:3], v[4:5], s[44:45], v[2:3]
	ds_load_2addr_b32 v[4:5], v60 offset0:7 offset1:10
	s_and_saveexec_b32 s3, s4
	s_cbranch_execz .LBB68_44
; %bb.43:                               ;   in Loop: Header=BB68_7 Depth=1
	s_wait_dscnt 0x0
	global_load_b64 v[28:29], v5, s[18:19] scale_offset
	s_wait_loadcnt 0x0
	v_mul_f64_e32 v[28:29], v[2:3], v[28:29]
	global_store_b64 v5, v[28:29], s[18:19] scale_offset
.LBB68_44:                              ;   in Loop: Header=BB68_7 Depth=1
	s_wait_xcnt 0x0
	s_or_b32 exec_lo, exec_lo, s3
	s_wait_dscnt 0x0
	v_add_nc_u32_e32 v28, v4, v6
	s_mov_b32 s3, exec_lo
	s_delay_alu instid0(VALU_DEP_1)
	v_cmpx_lt_i32_e64 v28, v5
	s_cbranch_execz .LBB68_47
; %bb.45:                               ;   in Loop: Header=BB68_7 Depth=1
	v_ashrrev_i32_e32 v29, 31, v28
	s_mov_b32 s5, 0
	s_delay_alu instid0(VALU_DEP_1)
	v_lshlrev_b64_e32 v[30:31], 3, v[28:29]
.LBB68_46:                              ;   Parent Loop BB68_7 Depth=1
                                        ; =>  This Inner Loop Header: Depth=2
	s_delay_alu instid0(VALU_DEP_1)
	v_add_nc_u64_e32 v[32:33], s[18:19], v[30:31]
	v_add_nc_u64_e32 v[36:37], s[46:47], v[30:31]
	;; [unrolled: 1-line block ×3, first 2 shown]
	v_add_nc_u32_e32 v28, s36, v28
	global_load_b64 v[34:35], v[32:33], off
	v_cmp_ge_i32_e32 vcc_lo, v28, v5
	s_or_b32 s5, vcc_lo, s5
	s_wait_loadcnt 0x0
	v_mul_f64_e32 v[34:35], v[2:3], v[34:35]
	global_store_b64 v[32:33], v[34:35], off
	global_load_b64 v[32:33], v[36:37], off
	s_wait_loadcnt 0x0
	v_mul_f64_e32 v[32:33], v[2:3], v[32:33]
	global_store_b64 v[36:37], v[32:33], off
	s_wait_xcnt 0x0
	s_and_not1_b32 exec_lo, exec_lo, s5
	s_cbranch_execnz .LBB68_46
.LBB68_47:                              ;   in Loop: Header=BB68_7 Depth=1
	s_or_b32 exec_lo, exec_lo, s3
.LBB68_48:                              ;   in Loop: Header=BB68_7 Depth=1
	s_wait_storecnt 0x0
	s_barrier_signal -1
	s_barrier_wait -1
	ds_load_b64 v[30:31], v60 offset:32
	ds_load_b32 v28, v60 offset:16
	s_mov_b32 s10, -1
                                        ; implicit-def: $vgpr34_vgpr35
                                        ; implicit-def: $vgpr32_vgpr33
                                        ; implicit-def: $vgpr29
	s_wait_dscnt 0x1
	v_cmp_gt_i32_e64 s3, s30, v31
	s_wait_dscnt 0x0
	v_cmp_lt_i32_e32 vcc_lo, v30, v28
	s_delay_alu instid0(VALU_DEP_2) | instskip(NEXT) | instid1(VALU_DEP_1)
	v_cndmask_b32_e64 v2, 0, 1, s3
	v_cmp_ne_u32_e64 s5, 1, v2
	s_cbranch_vccnz .LBB68_51
; %bb.49:                               ;   in Loop: Header=BB68_7 Depth=1
	v_mov_b64_e32 v[34:35], v[18:19]
	v_mov_b64_e32 v[32:33], v[16:17]
	v_dual_mov_b32 v29, v7 :: v_dual_mov_b32 v43, v31
	v_dual_mov_b32 v42, v30 :: v_dual_mov_b32 v36, v28
	s_and_b32 vcc_lo, exec_lo, s5
	s_cbranch_vccz .LBB68_151
.LBB68_50:                              ;   in Loop: Header=BB68_7 Depth=1
	s_mov_b32 s10, 0
.LBB68_51:                              ;   in Loop: Header=BB68_7 Depth=1
	s_delay_alu instid0(SALU_CYCLE_1)
	s_and_not1_b32 vcc_lo, exec_lo, s10
	s_cbranch_vccz .LBB68_68
; %bb.52:                               ;   in Loop: Header=BB68_7 Depth=1
	v_mov_b64_e32 v[16:17], v[32:33]
	v_mov_b64_e32 v[18:19], v[34:35]
	v_mov_b32_e32 v7, v29
.LBB68_53:                              ;   in Loop: Header=BB68_7 Depth=1
	s_barrier_signal -1
	s_barrier_wait -1
	ds_load_b64 v[2:3], v60 offset:8
	s_wait_dscnt 0x0
	v_cmp_nlt_f64_e32 vcc_lo, s[44:45], v[2:3]
	s_cbranch_vccnz .LBB68_60
; %bb.54:                               ;   in Loop: Header=BB68_7 Depth=1
	v_div_scale_f64 v[4:5], null, v[2:3], v[2:3], s[44:45]
	s_delay_alu instid0(VALU_DEP_1) | instskip(SKIP_1) | instid1(TRANS32_DEP_1)
	v_rcp_f64_e32 v[28:29], v[4:5]
	v_nop
	v_fma_f64 v[30:31], -v[4:5], v[28:29], 1.0
	s_delay_alu instid0(VALU_DEP_1) | instskip(NEXT) | instid1(VALU_DEP_1)
	v_fmac_f64_e32 v[28:29], v[28:29], v[30:31]
	v_fma_f64 v[30:31], -v[4:5], v[28:29], 1.0
	s_delay_alu instid0(VALU_DEP_1) | instskip(SKIP_1) | instid1(VALU_DEP_1)
	v_fmac_f64_e32 v[28:29], v[28:29], v[30:31]
	v_div_scale_f64 v[30:31], vcc_lo, s[44:45], v[2:3], s[44:45]
	v_mul_f64_e32 v[32:33], v[30:31], v[28:29]
	s_delay_alu instid0(VALU_DEP_1) | instskip(NEXT) | instid1(VALU_DEP_1)
	v_fma_f64 v[4:5], -v[4:5], v[32:33], v[30:31]
	v_div_fmas_f64 v[4:5], v[4:5], v[28:29], v[32:33]
	ds_load_2addr_b32 v[28:29], v60 offset0:7 offset1:10
	v_div_fixup_f64 v[4:5], v[4:5], v[2:3], s[44:45]
	s_and_saveexec_b32 s3, s4
	s_cbranch_execz .LBB68_56
; %bb.55:                               ;   in Loop: Header=BB68_7 Depth=1
	s_wait_dscnt 0x0
	global_load_b64 v[30:31], v29, s[18:19] scale_offset
	s_wait_loadcnt 0x0
	v_mul_f64_e32 v[30:31], v[4:5], v[30:31]
	global_store_b64 v29, v[30:31], s[18:19] scale_offset
.LBB68_56:                              ;   in Loop: Header=BB68_7 Depth=1
	s_wait_xcnt 0x0
	s_or_b32 exec_lo, exec_lo, s3
	s_wait_dscnt 0x0
	v_add_nc_u32_e32 v30, v28, v6
	s_mov_b32 s3, exec_lo
	s_delay_alu instid0(VALU_DEP_1)
	v_cmpx_lt_i32_e64 v30, v29
	s_cbranch_execz .LBB68_59
; %bb.57:                               ;   in Loop: Header=BB68_7 Depth=1
	v_ashrrev_i32_e32 v31, 31, v30
	s_mov_b32 s5, 0
	s_delay_alu instid0(VALU_DEP_1)
	v_lshlrev_b64_e32 v[32:33], 3, v[30:31]
.LBB68_58:                              ;   Parent Loop BB68_7 Depth=1
                                        ; =>  This Inner Loop Header: Depth=2
	s_delay_alu instid0(VALU_DEP_1)
	v_add_nc_u64_e32 v[34:35], s[18:19], v[32:33]
	v_add_nc_u64_e32 v[38:39], s[46:47], v[32:33]
	;; [unrolled: 1-line block ×3, first 2 shown]
	v_add_nc_u32_e32 v30, s36, v30
	global_load_b64 v[36:37], v[34:35], off
	v_cmp_ge_i32_e32 vcc_lo, v30, v29
	s_or_b32 s5, vcc_lo, s5
	s_wait_loadcnt 0x0
	v_mul_f64_e32 v[36:37], v[4:5], v[36:37]
	global_store_b64 v[34:35], v[36:37], off
	global_load_b64 v[34:35], v[38:39], off
	s_wait_loadcnt 0x0
	v_mul_f64_e32 v[34:35], v[4:5], v[34:35]
	global_store_b64 v[38:39], v[34:35], off
	s_wait_xcnt 0x0
	s_and_not1_b32 exec_lo, exec_lo, s5
	s_cbranch_execnz .LBB68_58
.LBB68_59:                              ;   in Loop: Header=BB68_7 Depth=1
	s_or_b32 exec_lo, exec_lo, s3
.LBB68_60:                              ;   in Loop: Header=BB68_7 Depth=1
	v_cmp_ngt_f64_e32 vcc_lo, s[26:27], v[2:3]
	s_cbranch_vccnz .LBB68_5
; %bb.61:                               ;   in Loop: Header=BB68_7 Depth=1
	v_div_scale_f64 v[4:5], null, v[2:3], v[2:3], s[26:27]
	s_delay_alu instid0(VALU_DEP_1) | instskip(SKIP_1) | instid1(TRANS32_DEP_1)
	v_rcp_f64_e32 v[28:29], v[4:5]
	v_nop
	v_fma_f64 v[30:31], -v[4:5], v[28:29], 1.0
	s_delay_alu instid0(VALU_DEP_1) | instskip(NEXT) | instid1(VALU_DEP_1)
	v_fmac_f64_e32 v[28:29], v[28:29], v[30:31]
	v_fma_f64 v[30:31], -v[4:5], v[28:29], 1.0
	s_delay_alu instid0(VALU_DEP_1) | instskip(SKIP_1) | instid1(VALU_DEP_1)
	v_fmac_f64_e32 v[28:29], v[28:29], v[30:31]
	v_div_scale_f64 v[30:31], vcc_lo, s[26:27], v[2:3], s[26:27]
	v_mul_f64_e32 v[32:33], v[30:31], v[28:29]
	s_delay_alu instid0(VALU_DEP_1) | instskip(NEXT) | instid1(VALU_DEP_1)
	v_fma_f64 v[4:5], -v[4:5], v[32:33], v[30:31]
	v_div_fmas_f64 v[4:5], v[4:5], v[28:29], v[32:33]
	s_delay_alu instid0(VALU_DEP_1)
	v_div_fixup_f64 v[2:3], v[4:5], v[2:3], s[26:27]
	ds_load_2addr_b32 v[4:5], v60 offset0:7 offset1:10
	s_and_saveexec_b32 s3, s4
	s_cbranch_execz .LBB68_63
; %bb.62:                               ;   in Loop: Header=BB68_7 Depth=1
	s_wait_dscnt 0x0
	global_load_b64 v[28:29], v5, s[18:19] scale_offset
	s_wait_loadcnt 0x0
	v_mul_f64_e32 v[28:29], v[2:3], v[28:29]
	global_store_b64 v5, v[28:29], s[18:19] scale_offset
.LBB68_63:                              ;   in Loop: Header=BB68_7 Depth=1
	s_wait_xcnt 0x0
	s_or_b32 exec_lo, exec_lo, s3
	s_wait_dscnt 0x0
	v_add_nc_u32_e32 v28, v4, v6
	s_mov_b32 s3, exec_lo
	s_delay_alu instid0(VALU_DEP_1)
	v_cmpx_lt_i32_e64 v28, v5
	s_cbranch_execz .LBB68_4
; %bb.64:                               ;   in Loop: Header=BB68_7 Depth=1
	v_ashrrev_i32_e32 v29, 31, v28
	s_mov_b32 s5, 0
	s_delay_alu instid0(VALU_DEP_1)
	v_lshlrev_b64_e32 v[30:31], 3, v[28:29]
.LBB68_65:                              ;   Parent Loop BB68_7 Depth=1
                                        ; =>  This Inner Loop Header: Depth=2
	s_delay_alu instid0(VALU_DEP_1)
	v_add_nc_u64_e32 v[32:33], s[18:19], v[30:31]
	v_add_nc_u64_e32 v[36:37], s[46:47], v[30:31]
	;; [unrolled: 1-line block ×3, first 2 shown]
	v_add_nc_u32_e32 v28, s36, v28
	global_load_b64 v[34:35], v[32:33], off
	v_cmp_ge_i32_e32 vcc_lo, v28, v5
	s_or_b32 s5, vcc_lo, s5
	s_wait_loadcnt 0x0
	v_mul_f64_e32 v[34:35], v[2:3], v[34:35]
	global_store_b64 v[32:33], v[34:35], off
	global_load_b64 v[32:33], v[36:37], off
	s_wait_loadcnt 0x0
	v_mul_f64_e32 v[32:33], v[2:3], v[32:33]
	global_store_b64 v[36:37], v[32:33], off
	s_wait_xcnt 0x0
	s_and_not1_b32 exec_lo, exec_lo, s5
	s_cbranch_execnz .LBB68_65
	s_branch .LBB68_4
.LBB68_66:                              ;   in Loop: Header=BB68_68 Depth=2
	s_or_b32 exec_lo, exec_lo, s3
	s_wait_storecnt 0x0
	s_barrier_signal -1
	s_barrier_wait -1
	ds_load_b32 v28, v60 offset:16
.LBB68_67:                              ;   in Loop: Header=BB68_68 Depth=2
	ds_load_b64 v[30:31], v60 offset:32
	s_wait_dscnt 0x0
	v_cmp_ge_i32_e32 vcc_lo, v28, v30
	v_cmp_gt_i32_e64 s3, s30, v31
	s_and_b32 s3, vcc_lo, s3
.LBB68_68:                              ;   Parent Loop BB68_7 Depth=1
                                        ; =>  This Loop Header: Depth=2
                                        ;       Child Loop BB68_75 Depth 3
                                        ;       Child Loop BB68_95 Depth 3
                                        ;       Child Loop BB68_146 Depth 3
                                        ;         Child Loop BB68_147 Depth 4
	s_delay_alu instid0(SALU_CYCLE_1)
	s_and_not1_b32 vcc_lo, exec_lo, s3
	s_cbranch_vccnz .LBB68_53
; %bb.69:                               ;   in Loop: Header=BB68_68 Depth=2
	s_and_saveexec_b32 s5, s4
	s_cbranch_execz .LBB68_142
; %bb.70:                               ;   in Loop: Header=BB68_68 Depth=2
	v_cmp_gt_i32_e32 vcc_lo, v28, v30
	s_mov_b32 s3, 0
	s_cbranch_vccnz .LBB68_72
; %bb.71:                               ;   in Loop: Header=BB68_68 Depth=2
	v_ashrrev_i32_e32 v29, 31, v28
	s_mov_b32 s10, -1
	s_delay_alu instid0(VALU_DEP_1)
	v_mov_b64_e32 v[36:37], v[28:29]
	v_mov_b32_e32 v32, v28
	s_cbranch_execz .LBB68_73
	s_branch .LBB68_78
.LBB68_72:                              ;   in Loop: Header=BB68_68 Depth=2
	s_mov_b32 s10, 0
                                        ; implicit-def: $vgpr36_vgpr37
	v_mov_b32_e32 v32, v28
.LBB68_73:                              ;   in Loop: Header=BB68_68 Depth=2
	v_dual_mov_b32 v4, v28 :: v_dual_ashrrev_i32 v29, 31, v28
	s_delay_alu instid0(VALU_DEP_1) | instskip(NEXT) | instid1(VALU_DEP_1)
	v_lshlrev_b64_e32 v[2:3], 3, v[28:29]
	v_add_nc_u64_e32 v[14:15], s[46:47], v[2:3]
	v_add_nc_u64_e32 v[2:3], s[74:75], v[2:3]
	s_branch .LBB68_75
.LBB68_74:                              ;   in Loop: Header=BB68_75 Depth=3
	v_add_nc_u32_e32 v4, -1, v61
	v_add_nc_u64_e32 v[2:3], -8, v[2:3]
	s_mov_b32 s3, 0
	s_delay_alu instid0(VALU_DEP_2)
	v_cmp_le_i32_e64 s10, v4, v30
	v_add_nc_u64_e32 v[14:15], -8, v[14:15]
	s_and_not1_b32 vcc_lo, exec_lo, s10
	s_cbranch_vccz .LBB68_77
.LBB68_75:                              ;   Parent Loop BB68_7 Depth=1
                                        ;     Parent Loop BB68_68 Depth=2
                                        ; =>    This Inner Loop Header: Depth=3
	global_load_b128 v[32:35], v[2:3], off
	global_load_b64 v[20:21], v[14:15], off offset:-8
	s_wait_loadcnt 0x1
	v_dual_mul_f64 v[32:33], v[34:35], v[32:33] :: v_dual_mov_b32 v61, v4
	s_wait_loadcnt 0x0
	v_mul_f64_e32 v[20:21], v[20:21], v[20:21]
	s_delay_alu instid0(VALU_DEP_2) | instskip(NEXT) | instid1(VALU_DEP_1)
	v_mul_f64_e64 v[32:33], v[8:9], |v[32:33]|
	v_cmp_le_f64_e64 s3, |v[20:21]|, v[32:33]
	s_and_b32 vcc_lo, exec_lo, s3
	s_cbranch_vccz .LBB68_74
; %bb.76:                               ;   in Loop: Header=BB68_68 Depth=2
	s_mov_b32 s3, -1
                                        ; implicit-def: $vgpr4
                                        ; implicit-def: $vgpr2_vgpr3
	v_add_nc_u64_e32 v[14:15], -8, v[14:15]
.LBB68_77:                              ;   in Loop: Header=BB68_68 Depth=2
	v_mov_b64_e32 v[20:21], v[28:29]
	v_mov_b64_e32 v[36:37], v[28:29]
	v_mov_b32_e32 v32, v30
	s_xor_b32 s10, s3, -1
	s_mov_b32 s3, -1
.LBB68_78:                              ;   in Loop: Header=BB68_68 Depth=2
	s_and_b32 vcc_lo, exec_lo, s10
	s_cbranch_vccnz .LBB68_107
; %bb.79:                               ;   in Loop: Header=BB68_68 Depth=2
	s_and_not1_b32 vcc_lo, exec_lo, s3
	s_cbranch_vccnz .LBB68_81
.LBB68_80:                              ;   in Loop: Header=BB68_68 Depth=2
	v_mov_b64_e32 v[36:37], v[20:21]
	v_mov_b32_e32 v32, v61
	ds_store_2addr_b32 v60, v61, v28 offset0:5 offset1:7
	global_store_b64 v[14:15], v[12:13], off
.LBB68_81:                              ;   in Loop: Header=BB68_68 Depth=2
	v_lshl_add_u64 v[34:35], v[36:37], 3, s[18:19]
	v_add_nc_u32_e32 v2, -1, v28
	s_mov_b32 s3, exec_lo
	global_load_b64 v[40:41], v[34:35], off
	s_wait_loadcnt 0x0
	ds_store_b64 v60, v[40:41]
	s_wait_xcnt 0x0
	v_cmpx_ne_u32_e64 v32, v28
	s_xor_b32 s10, exec_lo, s3
	s_cbranch_execz .LBB68_139
; %bb.82:                               ;   in Loop: Header=BB68_68 Depth=2
	s_mov_b32 s3, exec_lo
	v_cmpx_ne_u32_e64 v32, v2
	s_xor_b32 s3, exec_lo, s3
	s_cbranch_execz .LBB68_111
; %bb.83:                               ;   in Loop: Header=BB68_68 Depth=2
	v_lshl_add_u64 v[2:3], v[36:37], 3, s[46:47]
	s_mov_b32 s31, exec_lo
	global_load_b64 v[4:5], v[34:35], off offset:-8
	global_load_b64 v[36:37], v[2:3], off offset:-8
	global_load_b64 v[38:39], v32, s[18:19] scale_offset
	s_wait_loadcnt 0x2
	v_add_f64_e64 v[4:5], v[4:5], -v[40:41]
	s_wait_loadcnt 0x1
	v_add_f64_e32 v[42:43], v[36:37], v[36:37]
	s_delay_alu instid0(VALU_DEP_1) | instskip(SKIP_1) | instid1(VALU_DEP_2)
	v_div_scale_f64 v[44:45], null, v[42:43], v[42:43], v[4:5]
	v_div_scale_f64 v[50:51], vcc_lo, v[4:5], v[42:43], v[4:5]
	v_rcp_f64_e32 v[46:47], v[44:45]
	v_nop
	s_delay_alu instid0(TRANS32_DEP_1) | instskip(NEXT) | instid1(VALU_DEP_1)
	v_fma_f64 v[48:49], -v[44:45], v[46:47], 1.0
	v_fmac_f64_e32 v[46:47], v[46:47], v[48:49]
	s_delay_alu instid0(VALU_DEP_1) | instskip(NEXT) | instid1(VALU_DEP_1)
	v_fma_f64 v[48:49], -v[44:45], v[46:47], 1.0
	v_fmac_f64_e32 v[46:47], v[46:47], v[48:49]
	s_delay_alu instid0(VALU_DEP_1) | instskip(NEXT) | instid1(VALU_DEP_1)
	v_mul_f64_e32 v[48:49], v[50:51], v[46:47]
	v_fma_f64 v[44:45], -v[44:45], v[48:49], v[50:51]
	s_delay_alu instid0(VALU_DEP_1) | instskip(NEXT) | instid1(VALU_DEP_1)
	v_div_fmas_f64 v[44:45], v[44:45], v[46:47], v[48:49]
	v_div_fixup_f64 v[4:5], v[44:45], v[42:43], v[4:5]
	s_delay_alu instid0(VALU_DEP_1) | instskip(NEXT) | instid1(VALU_DEP_1)
	v_fma_f64 v[42:43], v[4:5], v[4:5], 1.0
	v_cmp_gt_f64_e32 vcc_lo, 0x10000000, v[42:43]
	v_cndmask_b32_e64 v29, 0, 0x100, vcc_lo
	s_delay_alu instid0(VALU_DEP_1) | instskip(SKIP_1) | instid1(VALU_DEP_2)
	v_ldexp_f64 v[42:43], v[42:43], v29
	v_cndmask_b32_e64 v29, 0, 0xffffff80, vcc_lo
	v_rsq_f64_e32 v[44:45], v[42:43]
	v_cmp_class_f64_e64 vcc_lo, v[42:43], 0x260
	s_delay_alu instid0(TRANS32_DEP_1) | instskip(SKIP_1) | instid1(VALU_DEP_1)
	v_mul_f64_e32 v[46:47], v[42:43], v[44:45]
	v_mul_f64_e32 v[44:45], 0.5, v[44:45]
	v_fma_f64 v[48:49], -v[44:45], v[46:47], 0.5
	s_delay_alu instid0(VALU_DEP_1) | instskip(SKIP_1) | instid1(VALU_DEP_2)
	v_fmac_f64_e32 v[46:47], v[46:47], v[48:49]
	v_fmac_f64_e32 v[44:45], v[44:45], v[48:49]
	v_fma_f64 v[48:49], -v[46:47], v[46:47], v[42:43]
	s_delay_alu instid0(VALU_DEP_1) | instskip(NEXT) | instid1(VALU_DEP_1)
	v_fmac_f64_e32 v[46:47], v[48:49], v[44:45]
	v_fma_f64 v[48:49], -v[46:47], v[46:47], v[42:43]
	s_delay_alu instid0(VALU_DEP_1) | instskip(NEXT) | instid1(VALU_DEP_1)
	v_fmac_f64_e32 v[46:47], v[48:49], v[44:45]
	v_ldexp_f64 v[44:45], v[46:47], v29
	s_delay_alu instid0(VALU_DEP_1) | instskip(NEXT) | instid1(VALU_DEP_1)
	v_cndmask_b32_e32 v29, v45, v43, vcc_lo
	v_and_b32_e32 v30, 0x7fffffff, v29
	v_or_b32_e32 v29, 0x80000000, v29
	s_delay_alu instid0(VALU_DEP_4) | instskip(SKIP_1) | instid1(VALU_DEP_3)
	v_cndmask_b32_e32 v42, v44, v42, vcc_lo
	v_cmp_nle_f64_e32 vcc_lo, 0, v[4:5]
	v_dual_cndmask_b32 v43, v30, v29, vcc_lo :: v_dual_add_nc_u32 v29, 1, v31
	ds_store_b32 v60, v29 offset:36
	ds_store_b64 v60, v[12:13]
	v_add_f64_e32 v[4:5], v[4:5], v[42:43]
	s_delay_alu instid0(VALU_DEP_1) | instskip(NEXT) | instid1(VALU_DEP_1)
	v_div_scale_f64 v[42:43], null, v[4:5], v[4:5], v[36:37]
	v_rcp_f64_e32 v[44:45], v[42:43]
	v_nop
	s_delay_alu instid0(TRANS32_DEP_1) | instskip(NEXT) | instid1(VALU_DEP_1)
	v_fma_f64 v[46:47], -v[42:43], v[44:45], 1.0
	v_fmac_f64_e32 v[44:45], v[44:45], v[46:47]
	s_delay_alu instid0(VALU_DEP_1) | instskip(NEXT) | instid1(VALU_DEP_1)
	v_fma_f64 v[46:47], -v[42:43], v[44:45], 1.0
	v_fmac_f64_e32 v[44:45], v[44:45], v[46:47]
	v_div_scale_f64 v[46:47], vcc_lo, v[36:37], v[4:5], v[36:37]
	s_delay_alu instid0(VALU_DEP_1) | instskip(NEXT) | instid1(VALU_DEP_1)
	v_mul_f64_e32 v[48:49], v[46:47], v[44:45]
	v_fma_f64 v[42:43], -v[42:43], v[48:49], v[46:47]
	s_delay_alu instid0(VALU_DEP_1) | instskip(SKIP_2) | instid1(VALU_DEP_2)
	v_div_fmas_f64 v[42:43], v[42:43], v[44:45], v[48:49]
	s_wait_loadcnt 0x0
	v_add_f64_e64 v[44:45], v[38:39], -v[40:41]
	v_div_fixup_f64 v[4:5], v[42:43], v[4:5], v[36:37]
	v_mov_b64_e32 v[36:37], 0
	s_delay_alu instid0(VALU_DEP_2)
	v_add_f64_e32 v[4:5], v[44:45], v[4:5]
	s_wait_xcnt 0x0
	v_cmpx_lt_i32_e64 v32, v28
	s_cbranch_execz .LBB68_110
; %bb.84:                               ;   in Loop: Header=BB68_68 Depth=2
	v_ashrrev_i32_e32 v33, 31, v32
	v_mov_b64_e32 v[42:43], 0
	s_mov_b32 s33, exec_lo
	s_delay_alu instid0(VALU_DEP_2)
	v_lshl_add_u64 v[30:31], v[32:33], 3, s[46:47]
	global_load_b64 v[40:41], v[30:31], off
	s_wait_xcnt 0x0
	v_mov_b64_e32 v[30:31], 1.0
	s_wait_loadcnt 0x0
	v_cmpx_neq_f64_e32 0, v[40:41]
	s_cbranch_execz .LBB68_92
; %bb.85:                               ;   in Loop: Header=BB68_68 Depth=2
	v_mov_b64_e32 v[30:31], 0
	v_mov_b64_e32 v[42:43], 1.0
	s_mov_b32 s37, exec_lo
	v_cmpx_neq_f64_e32 0, v[4:5]
	s_cbranch_execz .LBB68_91
; %bb.86:                               ;   in Loop: Header=BB68_68 Depth=2
	v_cmp_ngt_f64_e64 s39, |v[40:41]|, |v[4:5]|
                                        ; implicit-def: $vgpr42_vgpr43
                                        ; implicit-def: $vgpr30_vgpr31
	s_and_saveexec_b32 s76, s39
	s_delay_alu instid0(SALU_CYCLE_1)
	s_xor_b32 s39, exec_lo, s76
	s_cbranch_execz .LBB68_88
; %bb.87:                               ;   in Loop: Header=BB68_68 Depth=2
	v_div_scale_f64 v[30:31], null, v[4:5], v[4:5], -v[40:41]
	v_div_scale_f64 v[44:45], vcc_lo, -v[40:41], v[4:5], -v[40:41]
	s_delay_alu instid0(VALU_DEP_2) | instskip(SKIP_1) | instid1(TRANS32_DEP_1)
	v_rcp_f64_e32 v[36:37], v[30:31]
	v_nop
	v_fma_f64 v[42:43], -v[30:31], v[36:37], 1.0
	s_delay_alu instid0(VALU_DEP_1) | instskip(NEXT) | instid1(VALU_DEP_1)
	v_fmac_f64_e32 v[36:37], v[36:37], v[42:43]
	v_fma_f64 v[42:43], -v[30:31], v[36:37], 1.0
	s_delay_alu instid0(VALU_DEP_1) | instskip(NEXT) | instid1(VALU_DEP_1)
	v_fmac_f64_e32 v[36:37], v[36:37], v[42:43]
	v_mul_f64_e32 v[42:43], v[44:45], v[36:37]
	s_delay_alu instid0(VALU_DEP_1) | instskip(NEXT) | instid1(VALU_DEP_1)
	v_fma_f64 v[30:31], -v[30:31], v[42:43], v[44:45]
	v_div_fmas_f64 v[30:31], v[30:31], v[36:37], v[42:43]
	s_delay_alu instid0(VALU_DEP_1) | instskip(NEXT) | instid1(VALU_DEP_1)
	v_div_fixup_f64 v[4:5], v[30:31], v[4:5], -v[40:41]
	v_fma_f64 v[30:31], v[4:5], v[4:5], 1.0
	s_delay_alu instid0(VALU_DEP_1) | instskip(SKIP_1) | instid1(VALU_DEP_1)
	v_cmp_gt_f64_e32 vcc_lo, 0x10000000, v[30:31]
	v_cndmask_b32_e64 v29, 0, 0x100, vcc_lo
	v_ldexp_f64 v[30:31], v[30:31], v29
	v_cndmask_b32_e64 v29, 0, 0xffffff80, vcc_lo
	s_delay_alu instid0(VALU_DEP_2) | instskip(SKIP_1) | instid1(TRANS32_DEP_1)
	v_rsq_f64_e32 v[36:37], v[30:31]
	v_cmp_class_f64_e64 vcc_lo, v[30:31], 0x260
	v_mul_f64_e32 v[42:43], v[30:31], v[36:37]
	v_mul_f64_e32 v[36:37], 0.5, v[36:37]
	s_delay_alu instid0(VALU_DEP_1) | instskip(NEXT) | instid1(VALU_DEP_1)
	v_fma_f64 v[44:45], -v[36:37], v[42:43], 0.5
	v_fmac_f64_e32 v[42:43], v[42:43], v[44:45]
	v_fmac_f64_e32 v[36:37], v[36:37], v[44:45]
	s_delay_alu instid0(VALU_DEP_2) | instskip(NEXT) | instid1(VALU_DEP_1)
	v_fma_f64 v[44:45], -v[42:43], v[42:43], v[30:31]
	v_fmac_f64_e32 v[42:43], v[44:45], v[36:37]
	s_delay_alu instid0(VALU_DEP_1) | instskip(NEXT) | instid1(VALU_DEP_1)
	v_fma_f64 v[44:45], -v[42:43], v[42:43], v[30:31]
	v_fmac_f64_e32 v[42:43], v[44:45], v[36:37]
	s_delay_alu instid0(VALU_DEP_1) | instskip(NEXT) | instid1(VALU_DEP_1)
	v_ldexp_f64 v[36:37], v[42:43], v29
	v_dual_cndmask_b32 v31, v37, v31 :: v_dual_cndmask_b32 v30, v36, v30
	s_delay_alu instid0(VALU_DEP_1) | instskip(NEXT) | instid1(VALU_DEP_1)
	v_div_scale_f64 v[36:37], null, v[30:31], v[30:31], 1.0
	v_rcp_f64_e32 v[42:43], v[36:37]
	v_nop
	s_delay_alu instid0(TRANS32_DEP_1) | instskip(NEXT) | instid1(VALU_DEP_1)
	v_fma_f64 v[44:45], -v[36:37], v[42:43], 1.0
	v_fmac_f64_e32 v[42:43], v[42:43], v[44:45]
	s_delay_alu instid0(VALU_DEP_1) | instskip(NEXT) | instid1(VALU_DEP_1)
	v_fma_f64 v[44:45], -v[36:37], v[42:43], 1.0
	v_fmac_f64_e32 v[42:43], v[42:43], v[44:45]
	v_div_scale_f64 v[44:45], vcc_lo, 1.0, v[30:31], 1.0
	s_delay_alu instid0(VALU_DEP_1) | instskip(NEXT) | instid1(VALU_DEP_1)
	v_mul_f64_e32 v[46:47], v[44:45], v[42:43]
	v_fma_f64 v[36:37], -v[36:37], v[46:47], v[44:45]
	s_delay_alu instid0(VALU_DEP_1) | instskip(NEXT) | instid1(VALU_DEP_1)
	v_div_fmas_f64 v[36:37], v[36:37], v[42:43], v[46:47]
	v_div_fixup_f64 v[30:31], v[36:37], v[30:31], 1.0
	s_delay_alu instid0(VALU_DEP_1)
	v_mul_f64_e32 v[42:43], v[4:5], v[30:31]
                                        ; implicit-def: $vgpr4_vgpr5
.LBB68_88:                              ;   in Loop: Header=BB68_68 Depth=2
	s_and_not1_saveexec_b32 s39, s39
	s_cbranch_execz .LBB68_90
; %bb.89:                               ;   in Loop: Header=BB68_68 Depth=2
	v_div_scale_f64 v[30:31], null, v[40:41], v[40:41], -v[4:5]
	v_div_scale_f64 v[44:45], vcc_lo, -v[4:5], v[40:41], -v[4:5]
	s_delay_alu instid0(VALU_DEP_2) | instskip(SKIP_1) | instid1(TRANS32_DEP_1)
	v_rcp_f64_e32 v[36:37], v[30:31]
	v_nop
	v_fma_f64 v[42:43], -v[30:31], v[36:37], 1.0
	s_delay_alu instid0(VALU_DEP_1) | instskip(NEXT) | instid1(VALU_DEP_1)
	v_fmac_f64_e32 v[36:37], v[36:37], v[42:43]
	v_fma_f64 v[42:43], -v[30:31], v[36:37], 1.0
	s_delay_alu instid0(VALU_DEP_1) | instskip(NEXT) | instid1(VALU_DEP_1)
	v_fmac_f64_e32 v[36:37], v[36:37], v[42:43]
	v_mul_f64_e32 v[42:43], v[44:45], v[36:37]
	s_delay_alu instid0(VALU_DEP_1) | instskip(NEXT) | instid1(VALU_DEP_1)
	v_fma_f64 v[30:31], -v[30:31], v[42:43], v[44:45]
	v_div_fmas_f64 v[30:31], v[30:31], v[36:37], v[42:43]
	s_delay_alu instid0(VALU_DEP_1) | instskip(NEXT) | instid1(VALU_DEP_1)
	v_div_fixup_f64 v[4:5], v[30:31], v[40:41], -v[4:5]
	v_fma_f64 v[30:31], v[4:5], v[4:5], 1.0
	s_delay_alu instid0(VALU_DEP_1) | instskip(SKIP_1) | instid1(VALU_DEP_1)
	v_cmp_gt_f64_e32 vcc_lo, 0x10000000, v[30:31]
	v_cndmask_b32_e64 v29, 0, 0x100, vcc_lo
	v_ldexp_f64 v[30:31], v[30:31], v29
	v_cndmask_b32_e64 v29, 0, 0xffffff80, vcc_lo
	s_delay_alu instid0(VALU_DEP_2) | instskip(SKIP_1) | instid1(TRANS32_DEP_1)
	v_rsq_f64_e32 v[36:37], v[30:31]
	v_cmp_class_f64_e64 vcc_lo, v[30:31], 0x260
	v_mul_f64_e32 v[42:43], v[30:31], v[36:37]
	v_mul_f64_e32 v[36:37], 0.5, v[36:37]
	s_delay_alu instid0(VALU_DEP_1) | instskip(NEXT) | instid1(VALU_DEP_1)
	v_fma_f64 v[44:45], -v[36:37], v[42:43], 0.5
	v_fmac_f64_e32 v[42:43], v[42:43], v[44:45]
	v_fmac_f64_e32 v[36:37], v[36:37], v[44:45]
	s_delay_alu instid0(VALU_DEP_2) | instskip(NEXT) | instid1(VALU_DEP_1)
	v_fma_f64 v[44:45], -v[42:43], v[42:43], v[30:31]
	v_fmac_f64_e32 v[42:43], v[44:45], v[36:37]
	s_delay_alu instid0(VALU_DEP_1) | instskip(NEXT) | instid1(VALU_DEP_1)
	v_fma_f64 v[44:45], -v[42:43], v[42:43], v[30:31]
	v_fmac_f64_e32 v[42:43], v[44:45], v[36:37]
	s_delay_alu instid0(VALU_DEP_1) | instskip(NEXT) | instid1(VALU_DEP_1)
	v_ldexp_f64 v[36:37], v[42:43], v29
	v_dual_cndmask_b32 v31, v37, v31 :: v_dual_cndmask_b32 v30, v36, v30
	s_delay_alu instid0(VALU_DEP_1) | instskip(NEXT) | instid1(VALU_DEP_1)
	v_div_scale_f64 v[36:37], null, v[30:31], v[30:31], 1.0
	v_rcp_f64_e32 v[42:43], v[36:37]
	v_nop
	s_delay_alu instid0(TRANS32_DEP_1) | instskip(NEXT) | instid1(VALU_DEP_1)
	v_fma_f64 v[44:45], -v[36:37], v[42:43], 1.0
	v_fmac_f64_e32 v[42:43], v[42:43], v[44:45]
	s_delay_alu instid0(VALU_DEP_1) | instskip(NEXT) | instid1(VALU_DEP_1)
	v_fma_f64 v[44:45], -v[36:37], v[42:43], 1.0
	v_fmac_f64_e32 v[42:43], v[42:43], v[44:45]
	v_div_scale_f64 v[44:45], vcc_lo, 1.0, v[30:31], 1.0
	s_delay_alu instid0(VALU_DEP_1) | instskip(NEXT) | instid1(VALU_DEP_1)
	v_mul_f64_e32 v[46:47], v[44:45], v[42:43]
	v_fma_f64 v[36:37], -v[36:37], v[46:47], v[44:45]
	s_delay_alu instid0(VALU_DEP_1) | instskip(NEXT) | instid1(VALU_DEP_1)
	v_div_fmas_f64 v[36:37], v[36:37], v[42:43], v[46:47]
	v_div_fixup_f64 v[42:43], v[36:37], v[30:31], 1.0
	s_delay_alu instid0(VALU_DEP_1)
	v_mul_f64_e32 v[30:31], v[4:5], v[42:43]
.LBB68_90:                              ;   in Loop: Header=BB68_68 Depth=2
	s_or_b32 exec_lo, exec_lo, s39
.LBB68_91:                              ;   in Loop: Header=BB68_68 Depth=2
	s_delay_alu instid0(SALU_CYCLE_1)
	s_or_b32 exec_lo, exec_lo, s37
.LBB68_92:                              ;   in Loop: Header=BB68_68 Depth=2
	s_delay_alu instid0(SALU_CYCLE_1) | instskip(SKIP_1) | instid1(VALU_DEP_2)
	s_or_b32 exec_lo, exec_lo, s33
	v_lshl_add_u64 v[44:45], v[32:33], 3, s[18:19]
	v_add_f64_e32 v[36:37], v[30:31], v[30:31]
	s_delay_alu instid0(VALU_DEP_3) | instskip(SKIP_1) | instid1(VALU_DEP_4)
	v_xor_b32_e32 v51, 0x80000000, v43
	s_mov_b32 s33, exec_lo
	v_mov_b32_e32 v50, v42
	global_load_b64 v[4:5], v[44:45], off offset:8
	s_wait_loadcnt 0x0
	v_add_f64_e64 v[4:5], v[4:5], -v[38:39]
	s_delay_alu instid0(VALU_DEP_1) | instskip(NEXT) | instid1(VALU_DEP_1)
	v_mul_f64_e32 v[4:5], v[42:43], v[4:5]
	v_fma_f64 v[4:5], v[40:41], v[36:37], -v[4:5]
	s_delay_alu instid0(VALU_DEP_1) | instskip(SKIP_4) | instid1(VALU_DEP_2)
	v_mul_f64_e64 v[36:37], v[4:5], -v[42:43]
	v_fma_f64 v[46:47], v[4:5], -v[42:43], v[38:39]
	v_fma_f64 v[4:5], v[30:31], v[4:5], -v[40:41]
	v_lshl_add_u64 v[40:41], v[32:33], 3, s[50:51]
	v_add_nc_u32_e32 v38, 1, v32
	v_lshl_add_u64 v[42:43], s[6:7], 3, v[40:41]
	ds_store_b64 v60, v[36:37]
	global_store_b64 v[44:45], v[46:47], off
	s_clause 0x1
	global_store_b64 v[40:41], v[30:31], off
	global_store_b64 v[42:43], v[50:51], off offset:-8
	s_wait_xcnt 0x0
	v_cmpx_lt_i32_e64 v38, v28
	s_cbranch_execz .LBB68_109
; %bb.93:                               ;   in Loop: Header=BB68_68 Depth=2
	v_ashrrev_i32_e32 v39, 31, v38
	s_mov_b32 s39, 1
	s_mov_b32 s37, 0
	s_delay_alu instid0(VALU_DEP_1) | instskip(NEXT) | instid1(VALU_DEP_1)
	v_lshlrev_b64_e32 v[42:43], 3, v[38:39]
	v_add_nc_u64_e32 v[38:39], s[50:51], v[42:43]
	v_add_nc_u64_e32 v[40:41], s[62:63], v[42:43]
	;; [unrolled: 1-line block ×3, first 2 shown]
	s_branch .LBB68_95
.LBB68_94:                              ;   in Loop: Header=BB68_95 Depth=3
	global_load_b128 v[52:55], v[42:43], off
	v_mul_f64_e32 v[30:31], v[30:31], v[44:45]
	v_add_f64_e32 v[44:45], v[48:49], v[48:49]
	s_add_co_i32 s39, s39, 1
	s_wait_xcnt 0x1
	v_add_nc_u64_e32 v[40:41], 8, v[40:41]
	v_add_nc_u32_e32 v29, s39, v32
	s_delay_alu instid0(VALU_DEP_1) | instskip(SKIP_3) | instid1(VALU_DEP_1)
	v_cmp_ge_i32_e32 vcc_lo, v29, v28
	s_or_b32 s37, vcc_lo, s37
	s_wait_loadcnt 0x0
	v_add_f64_e64 v[4:5], v[52:53], -v[36:37]
	v_add_f64_e64 v[36:37], v[54:55], -v[4:5]
	s_delay_alu instid0(VALU_DEP_1) | instskip(NEXT) | instid1(VALU_DEP_1)
	v_mul_f64_e32 v[36:37], v[50:51], v[36:37]
	v_fma_f64 v[44:45], v[30:31], v[44:45], -v[36:37]
	s_delay_alu instid0(VALU_DEP_1)
	v_fma_f64 v[46:47], v[44:45], -v[50:51], v[4:5]
	v_mul_f64_e64 v[36:37], v[44:45], -v[50:51]
	v_fma_f64 v[4:5], v[48:49], v[44:45], -v[30:31]
	v_add_nc_u64_e32 v[30:31], 8, v[42:43]
	v_add_nc_u64_e32 v[44:45], s[64:65], v[38:39]
	v_xor_b32_e32 v51, 0x80000000, v51
	global_store_b64 v[42:43], v[46:47], off
	global_store_b64 v[38:39], v[48:49], off
	s_wait_xcnt 0x0
	v_add_nc_u64_e32 v[38:39], 8, v[38:39]
	v_mov_b64_e32 v[42:43], v[30:31]
	v_mov_b64_e32 v[30:31], v[48:49]
	global_store_b64 v[44:45], v[50:51], off
	s_wait_xcnt 0x0
	s_and_not1_b32 exec_lo, exec_lo, s37
	s_cbranch_execz .LBB68_108
.LBB68_95:                              ;   Parent Loop BB68_7 Depth=1
                                        ;     Parent Loop BB68_68 Depth=2
                                        ; =>    This Inner Loop Header: Depth=3
	global_load_b64 v[44:45], v[40:41], off offset:8
	v_mov_b64_e32 v[48:49], 1.0
	s_mov_b32 s76, exec_lo
	s_wait_loadcnt 0x0
	v_mul_f64_e32 v[46:47], v[50:51], v[44:45]
	v_mov_b64_e32 v[50:51], 0
	s_wait_xcnt 0x0
	s_delay_alu instid0(VALU_DEP_2)
	v_cmpx_neq_f64_e32 0, v[46:47]
	s_cbranch_execz .LBB68_105
; %bb.96:                               ;   in Loop: Header=BB68_95 Depth=3
	v_xor_b32_e32 v53, 0x80000000, v47
	v_mov_b32_e32 v52, v46
	s_mov_b32 s78, exec_lo
                                        ; implicit-def: $vgpr50_vgpr51
                                        ; implicit-def: $vgpr48_vgpr49
	v_cmpx_neq_f64_e32 0, v[4:5]
	s_xor_b32 s78, exec_lo, s78
	s_cbranch_execz .LBB68_102
; %bb.97:                               ;   in Loop: Header=BB68_95 Depth=3
	v_cmp_ngt_f64_e64 s79, |v[46:47]|, |v[4:5]|
                                        ; implicit-def: $vgpr50_vgpr51
                                        ; implicit-def: $vgpr48_vgpr49
	s_and_saveexec_b32 s80, s79
	s_delay_alu instid0(SALU_CYCLE_1)
	s_xor_b32 s79, exec_lo, s80
	s_cbranch_execz .LBB68_99
; %bb.98:                               ;   in Loop: Header=BB68_95 Depth=3
	v_div_scale_f64 v[48:49], null, v[4:5], v[4:5], -v[46:47]
	v_div_scale_f64 v[54:55], vcc_lo, -v[46:47], v[4:5], -v[46:47]
	s_delay_alu instid0(VALU_DEP_2) | instskip(SKIP_1) | instid1(TRANS32_DEP_1)
	v_rcp_f64_e32 v[50:51], v[48:49]
	v_nop
	v_fma_f64 v[52:53], -v[48:49], v[50:51], 1.0
	s_delay_alu instid0(VALU_DEP_1) | instskip(NEXT) | instid1(VALU_DEP_1)
	v_fmac_f64_e32 v[50:51], v[50:51], v[52:53]
	v_fma_f64 v[52:53], -v[48:49], v[50:51], 1.0
	s_delay_alu instid0(VALU_DEP_1) | instskip(NEXT) | instid1(VALU_DEP_1)
	v_fmac_f64_e32 v[50:51], v[50:51], v[52:53]
	v_mul_f64_e32 v[52:53], v[54:55], v[50:51]
	s_delay_alu instid0(VALU_DEP_1) | instskip(NEXT) | instid1(VALU_DEP_1)
	v_fma_f64 v[48:49], -v[48:49], v[52:53], v[54:55]
	v_div_fmas_f64 v[48:49], v[48:49], v[50:51], v[52:53]
	s_delay_alu instid0(VALU_DEP_1) | instskip(NEXT) | instid1(VALU_DEP_1)
	v_div_fixup_f64 v[50:51], v[48:49], v[4:5], -v[46:47]
	v_fma_f64 v[48:49], v[50:51], v[50:51], 1.0
	s_delay_alu instid0(VALU_DEP_1) | instskip(SKIP_1) | instid1(VALU_DEP_1)
	v_cmp_gt_f64_e32 vcc_lo, 0x10000000, v[48:49]
	v_cndmask_b32_e64 v29, 0, 0x100, vcc_lo
	v_ldexp_f64 v[48:49], v[48:49], v29
	v_cndmask_b32_e64 v29, 0, 0xffffff80, vcc_lo
	s_delay_alu instid0(VALU_DEP_2) | instskip(SKIP_1) | instid1(TRANS32_DEP_1)
	v_rsq_f64_e32 v[52:53], v[48:49]
	v_cmp_class_f64_e64 vcc_lo, v[48:49], 0x260
	v_mul_f64_e32 v[54:55], v[48:49], v[52:53]
	v_mul_f64_e32 v[52:53], 0.5, v[52:53]
	s_delay_alu instid0(VALU_DEP_1) | instskip(NEXT) | instid1(VALU_DEP_1)
	v_fma_f64 v[56:57], -v[52:53], v[54:55], 0.5
	v_fmac_f64_e32 v[54:55], v[54:55], v[56:57]
	v_fmac_f64_e32 v[52:53], v[52:53], v[56:57]
	s_delay_alu instid0(VALU_DEP_2) | instskip(NEXT) | instid1(VALU_DEP_1)
	v_fma_f64 v[56:57], -v[54:55], v[54:55], v[48:49]
	v_fmac_f64_e32 v[54:55], v[56:57], v[52:53]
	s_delay_alu instid0(VALU_DEP_1) | instskip(NEXT) | instid1(VALU_DEP_1)
	v_fma_f64 v[56:57], -v[54:55], v[54:55], v[48:49]
	v_fmac_f64_e32 v[54:55], v[56:57], v[52:53]
	s_delay_alu instid0(VALU_DEP_1) | instskip(NEXT) | instid1(VALU_DEP_1)
	v_ldexp_f64 v[52:53], v[54:55], v29
	v_dual_cndmask_b32 v49, v53, v49 :: v_dual_cndmask_b32 v48, v52, v48
	s_delay_alu instid0(VALU_DEP_1) | instskip(NEXT) | instid1(VALU_DEP_1)
	v_div_scale_f64 v[52:53], null, v[48:49], v[48:49], 1.0
	v_rcp_f64_e32 v[54:55], v[52:53]
	v_nop
	s_delay_alu instid0(TRANS32_DEP_1) | instskip(NEXT) | instid1(VALU_DEP_1)
	v_fma_f64 v[56:57], -v[52:53], v[54:55], 1.0
	v_fmac_f64_e32 v[54:55], v[54:55], v[56:57]
	s_delay_alu instid0(VALU_DEP_1) | instskip(NEXT) | instid1(VALU_DEP_1)
	v_fma_f64 v[56:57], -v[52:53], v[54:55], 1.0
	v_fmac_f64_e32 v[54:55], v[54:55], v[56:57]
	v_div_scale_f64 v[56:57], vcc_lo, 1.0, v[48:49], 1.0
	s_delay_alu instid0(VALU_DEP_1) | instskip(NEXT) | instid1(VALU_DEP_1)
	v_mul_f64_e32 v[58:59], v[56:57], v[54:55]
	v_fma_f64 v[52:53], -v[52:53], v[58:59], v[56:57]
	s_delay_alu instid0(VALU_DEP_1) | instskip(NEXT) | instid1(VALU_DEP_1)
	v_div_fmas_f64 v[52:53], v[52:53], v[54:55], v[58:59]
	v_div_fixup_f64 v[48:49], v[52:53], v[48:49], 1.0
	s_delay_alu instid0(VALU_DEP_1)
	v_mul_f64_e32 v[50:51], v[50:51], v[48:49]
.LBB68_99:                              ;   in Loop: Header=BB68_95 Depth=3
	s_and_not1_saveexec_b32 s79, s79
	s_cbranch_execz .LBB68_101
; %bb.100:                              ;   in Loop: Header=BB68_95 Depth=3
	v_div_scale_f64 v[48:49], null, v[46:47], v[46:47], -v[4:5]
	v_div_scale_f64 v[54:55], vcc_lo, -v[4:5], v[46:47], -v[4:5]
	s_delay_alu instid0(VALU_DEP_2) | instskip(SKIP_1) | instid1(TRANS32_DEP_1)
	v_rcp_f64_e32 v[50:51], v[48:49]
	v_nop
	v_fma_f64 v[52:53], -v[48:49], v[50:51], 1.0
	s_delay_alu instid0(VALU_DEP_1) | instskip(NEXT) | instid1(VALU_DEP_1)
	v_fmac_f64_e32 v[50:51], v[50:51], v[52:53]
	v_fma_f64 v[52:53], -v[48:49], v[50:51], 1.0
	s_delay_alu instid0(VALU_DEP_1) | instskip(NEXT) | instid1(VALU_DEP_1)
	v_fmac_f64_e32 v[50:51], v[50:51], v[52:53]
	v_mul_f64_e32 v[52:53], v[54:55], v[50:51]
	s_delay_alu instid0(VALU_DEP_1) | instskip(NEXT) | instid1(VALU_DEP_1)
	v_fma_f64 v[48:49], -v[48:49], v[52:53], v[54:55]
	v_div_fmas_f64 v[48:49], v[48:49], v[50:51], v[52:53]
	s_delay_alu instid0(VALU_DEP_1) | instskip(NEXT) | instid1(VALU_DEP_1)
	v_div_fixup_f64 v[48:49], v[48:49], v[46:47], -v[4:5]
	v_fma_f64 v[50:51], v[48:49], v[48:49], 1.0
	s_delay_alu instid0(VALU_DEP_1) | instskip(SKIP_1) | instid1(VALU_DEP_1)
	v_cmp_gt_f64_e32 vcc_lo, 0x10000000, v[50:51]
	v_cndmask_b32_e64 v29, 0, 0x100, vcc_lo
	v_ldexp_f64 v[50:51], v[50:51], v29
	v_cndmask_b32_e64 v29, 0, 0xffffff80, vcc_lo
	s_delay_alu instid0(VALU_DEP_2) | instskip(SKIP_1) | instid1(TRANS32_DEP_1)
	v_rsq_f64_e32 v[52:53], v[50:51]
	v_cmp_class_f64_e64 vcc_lo, v[50:51], 0x260
	v_mul_f64_e32 v[54:55], v[50:51], v[52:53]
	v_mul_f64_e32 v[52:53], 0.5, v[52:53]
	s_delay_alu instid0(VALU_DEP_1) | instskip(NEXT) | instid1(VALU_DEP_1)
	v_fma_f64 v[56:57], -v[52:53], v[54:55], 0.5
	v_fmac_f64_e32 v[54:55], v[54:55], v[56:57]
	v_fmac_f64_e32 v[52:53], v[52:53], v[56:57]
	s_delay_alu instid0(VALU_DEP_2) | instskip(NEXT) | instid1(VALU_DEP_1)
	v_fma_f64 v[56:57], -v[54:55], v[54:55], v[50:51]
	v_fmac_f64_e32 v[54:55], v[56:57], v[52:53]
	s_delay_alu instid0(VALU_DEP_1) | instskip(NEXT) | instid1(VALU_DEP_1)
	v_fma_f64 v[56:57], -v[54:55], v[54:55], v[50:51]
	v_fmac_f64_e32 v[54:55], v[56:57], v[52:53]
	s_delay_alu instid0(VALU_DEP_1) | instskip(NEXT) | instid1(VALU_DEP_1)
	v_ldexp_f64 v[52:53], v[54:55], v29
	v_dual_cndmask_b32 v51, v53, v51 :: v_dual_cndmask_b32 v50, v52, v50
	s_delay_alu instid0(VALU_DEP_1) | instskip(NEXT) | instid1(VALU_DEP_1)
	v_div_scale_f64 v[52:53], null, v[50:51], v[50:51], 1.0
	v_rcp_f64_e32 v[54:55], v[52:53]
	v_nop
	s_delay_alu instid0(TRANS32_DEP_1) | instskip(NEXT) | instid1(VALU_DEP_1)
	v_fma_f64 v[56:57], -v[52:53], v[54:55], 1.0
	v_fmac_f64_e32 v[54:55], v[54:55], v[56:57]
	s_delay_alu instid0(VALU_DEP_1) | instskip(NEXT) | instid1(VALU_DEP_1)
	v_fma_f64 v[56:57], -v[52:53], v[54:55], 1.0
	v_fmac_f64_e32 v[54:55], v[54:55], v[56:57]
	v_div_scale_f64 v[56:57], vcc_lo, 1.0, v[50:51], 1.0
	s_delay_alu instid0(VALU_DEP_1) | instskip(NEXT) | instid1(VALU_DEP_1)
	v_mul_f64_e32 v[58:59], v[56:57], v[54:55]
	v_fma_f64 v[52:53], -v[52:53], v[58:59], v[56:57]
	s_delay_alu instid0(VALU_DEP_1) | instskip(NEXT) | instid1(VALU_DEP_1)
	v_div_fmas_f64 v[52:53], v[52:53], v[54:55], v[58:59]
	v_div_fixup_f64 v[50:51], v[52:53], v[50:51], 1.0
	s_delay_alu instid0(VALU_DEP_1)
	v_mul_f64_e32 v[48:49], v[48:49], v[50:51]
.LBB68_101:                             ;   in Loop: Header=BB68_95 Depth=3
	s_or_b32 exec_lo, exec_lo, s79
	s_delay_alu instid0(VALU_DEP_1) | instskip(NEXT) | instid1(VALU_DEP_1)
	v_mul_f64_e32 v[46:47], v[46:47], v[50:51]
	v_fma_f64 v[52:53], v[4:5], v[48:49], -v[46:47]
.LBB68_102:                             ;   in Loop: Header=BB68_95 Depth=3
	s_and_not1_saveexec_b32 s78, s78
; %bb.103:                              ;   in Loop: Header=BB68_95 Depth=3
	v_mov_b64_e32 v[48:49], 0
	v_mov_b64_e32 v[50:51], 1.0
; %bb.104:                              ;   in Loop: Header=BB68_95 Depth=3
	s_or_b32 exec_lo, exec_lo, s78
	s_delay_alu instid0(VALU_DEP_3)
	v_mov_b64_e32 v[4:5], v[52:53]
.LBB68_105:                             ;   in Loop: Header=BB68_95 Depth=3
	s_or_b32 exec_lo, exec_lo, s76
	s_cmp_eq_u32 s39, 0
	s_cbranch_scc1 .LBB68_94
; %bb.106:                              ;   in Loop: Header=BB68_95 Depth=3
	global_store_b64 v[40:41], v[4:5], off
	s_branch .LBB68_94
.LBB68_107:                             ;   in Loop: Header=BB68_68 Depth=2
	ds_store_2addr_b32 v60, v32, v28 offset0:5 offset1:7
	s_cbranch_execz .LBB68_80
	s_branch .LBB68_81
.LBB68_108:                             ;   in Loop: Header=BB68_68 Depth=2
	s_or_b32 exec_lo, exec_lo, s37
	ds_store_b64 v60, v[36:37]
.LBB68_109:                             ;   in Loop: Header=BB68_68 Depth=2
	s_or_b32 exec_lo, exec_lo, s33
	global_load_b64 v[40:41], v[34:35], off
.LBB68_110:                             ;   in Loop: Header=BB68_68 Depth=2
	s_wait_xcnt 0x0
	s_or_b32 exec_lo, exec_lo, s31
	s_wait_loadcnt 0x0
	v_add_f64_e64 v[28:29], v[40:41], -v[36:37]
                                        ; implicit-def: $vgpr32
                                        ; implicit-def: $vgpr36_vgpr37
                                        ; implicit-def: $vgpr40_vgpr41
	global_store_b64 v[34:35], v[28:29], off
	global_store_b64 v[2:3], v[4:5], off offset:-8
                                        ; implicit-def: $vgpr34_vgpr35
                                        ; implicit-def: $vgpr28
.LBB68_111:                             ;   in Loop: Header=BB68_68 Depth=2
	s_wait_xcnt 0x0
	s_and_not1_saveexec_b32 s31, s3
	s_cbranch_execz .LBB68_148
; %bb.112:                              ;   in Loop: Header=BB68_68 Depth=2
	s_clause 0x1
	global_load_b64 v[2:3], v32, s[18:19] scale_offset
	global_load_b64 v[42:43], v32, s[46:47] scale_offset
                                        ; implicit-def: $vgpr44_vgpr45
	s_wait_loadcnt 0x1
	v_add_f64_e64 v[38:39], v[2:3], -v[40:41]
	s_wait_loadcnt 0x0
	v_add_f64_e32 v[30:31], v[42:43], v[42:43]
	s_delay_alu instid0(VALU_DEP_1) | instskip(SKIP_2) | instid1(SALU_CYCLE_1)
	v_cmp_ngt_f64_e64 s3, |v[38:39]|, |v[30:31]|
	s_wait_xcnt 0x0
	s_and_saveexec_b32 s33, s3
	s_xor_b32 s3, exec_lo, s33
	s_cbranch_execz .LBB68_118
; %bb.113:                              ;   in Loop: Header=BB68_68 Depth=2
	v_cmp_nlt_f64_e64 s33, |v[38:39]|, |v[30:31]|
                                        ; implicit-def: $vgpr44_vgpr45
	s_and_saveexec_b32 s37, s33
	s_delay_alu instid0(SALU_CYCLE_1)
	s_xor_b32 s33, exec_lo, s37
; %bb.114:                              ;   in Loop: Header=BB68_68 Depth=2
	v_mul_f64_e64 v[44:45], |v[30:31]|, s[66:67]
; %bb.115:                              ;   in Loop: Header=BB68_68 Depth=2
	s_and_not1_saveexec_b32 s33, s33
	s_cbranch_execz .LBB68_117
; %bb.116:                              ;   in Loop: Header=BB68_68 Depth=2
	v_and_b32_e32 v5, 0x7fffffff, v39
	v_dual_mov_b32 v4, v38 :: v_dual_mov_b32 v44, v30
	v_and_b32_e32 v45, 0x7fffffff, v31
	s_delay_alu instid0(VALU_DEP_1) | instskip(SKIP_1) | instid1(VALU_DEP_2)
	v_div_scale_f64 v[46:47], null, v[44:45], v[44:45], v[4:5]
	v_div_scale_f64 v[4:5], vcc_lo, v[4:5], v[44:45], v[4:5]
	v_rcp_f64_e32 v[48:49], v[46:47]
	v_nop
	s_delay_alu instid0(TRANS32_DEP_1) | instskip(NEXT) | instid1(VALU_DEP_1)
	v_fma_f64 v[50:51], -v[46:47], v[48:49], 1.0
	v_fmac_f64_e32 v[48:49], v[48:49], v[50:51]
	s_delay_alu instid0(VALU_DEP_1) | instskip(NEXT) | instid1(VALU_DEP_1)
	v_fma_f64 v[50:51], -v[46:47], v[48:49], 1.0
	v_fmac_f64_e32 v[48:49], v[48:49], v[50:51]
	s_delay_alu instid0(VALU_DEP_1) | instskip(NEXT) | instid1(VALU_DEP_1)
	v_mul_f64_e32 v[44:45], v[4:5], v[48:49]
	v_fma_f64 v[4:5], -v[46:47], v[44:45], v[4:5]
	s_delay_alu instid0(VALU_DEP_1) | instskip(NEXT) | instid1(VALU_DEP_1)
	v_div_fmas_f64 v[4:5], v[4:5], v[48:49], v[44:45]
	v_div_fixup_f64 v[4:5], v[4:5], |v[30:31]|, |v[38:39]|
	s_delay_alu instid0(VALU_DEP_1) | instskip(NEXT) | instid1(VALU_DEP_1)
	v_fma_f64 v[4:5], v[4:5], v[4:5], 1.0
	v_cmp_gt_f64_e32 vcc_lo, 0x10000000, v[4:5]
	v_cndmask_b32_e64 v29, 0, 0x100, vcc_lo
	s_delay_alu instid0(VALU_DEP_1) | instskip(SKIP_1) | instid1(VALU_DEP_2)
	v_ldexp_f64 v[4:5], v[4:5], v29
	v_cndmask_b32_e64 v29, 0, 0xffffff80, vcc_lo
	v_rsq_f64_e32 v[44:45], v[4:5]
	v_cmp_class_f64_e64 vcc_lo, v[4:5], 0x260
	s_delay_alu instid0(TRANS32_DEP_1) | instskip(SKIP_1) | instid1(VALU_DEP_1)
	v_mul_f64_e32 v[46:47], v[4:5], v[44:45]
	v_mul_f64_e32 v[44:45], 0.5, v[44:45]
	v_fma_f64 v[48:49], -v[44:45], v[46:47], 0.5
	s_delay_alu instid0(VALU_DEP_1) | instskip(SKIP_1) | instid1(VALU_DEP_2)
	v_fmac_f64_e32 v[46:47], v[46:47], v[48:49]
	v_fmac_f64_e32 v[44:45], v[44:45], v[48:49]
	v_fma_f64 v[48:49], -v[46:47], v[46:47], v[4:5]
	s_delay_alu instid0(VALU_DEP_1) | instskip(NEXT) | instid1(VALU_DEP_1)
	v_fmac_f64_e32 v[46:47], v[48:49], v[44:45]
	v_fma_f64 v[48:49], -v[46:47], v[46:47], v[4:5]
	s_delay_alu instid0(VALU_DEP_1) | instskip(NEXT) | instid1(VALU_DEP_1)
	v_fmac_f64_e32 v[46:47], v[48:49], v[44:45]
	v_ldexp_f64 v[44:45], v[46:47], v29
	s_delay_alu instid0(VALU_DEP_1) | instskip(NEXT) | instid1(VALU_DEP_1)
	v_dual_cndmask_b32 v5, v45, v5 :: v_dual_cndmask_b32 v4, v44, v4
	v_mul_f64_e64 v[44:45], |v[30:31]|, v[4:5]
.LBB68_117:                             ;   in Loop: Header=BB68_68 Depth=2
	s_or_b32 exec_lo, exec_lo, s33
.LBB68_118:                             ;   in Loop: Header=BB68_68 Depth=2
	s_and_not1_saveexec_b32 s3, s3
	s_cbranch_execz .LBB68_120
; %bb.119:                              ;   in Loop: Header=BB68_68 Depth=2
	v_and_b32_e32 v5, 0x7fffffff, v31
	v_dual_mov_b32 v4, v30 :: v_dual_mov_b32 v44, v38
	v_and_b32_e32 v45, 0x7fffffff, v39
	s_delay_alu instid0(VALU_DEP_1) | instskip(SKIP_1) | instid1(VALU_DEP_2)
	v_div_scale_f64 v[46:47], null, v[44:45], v[44:45], v[4:5]
	v_div_scale_f64 v[4:5], vcc_lo, v[4:5], v[44:45], v[4:5]
	v_rcp_f64_e32 v[48:49], v[46:47]
	v_nop
	s_delay_alu instid0(TRANS32_DEP_1) | instskip(NEXT) | instid1(VALU_DEP_1)
	v_fma_f64 v[50:51], -v[46:47], v[48:49], 1.0
	v_fmac_f64_e32 v[48:49], v[48:49], v[50:51]
	s_delay_alu instid0(VALU_DEP_1) | instskip(NEXT) | instid1(VALU_DEP_1)
	v_fma_f64 v[50:51], -v[46:47], v[48:49], 1.0
	v_fmac_f64_e32 v[48:49], v[48:49], v[50:51]
	s_delay_alu instid0(VALU_DEP_1) | instskip(NEXT) | instid1(VALU_DEP_1)
	v_mul_f64_e32 v[44:45], v[4:5], v[48:49]
	v_fma_f64 v[4:5], -v[46:47], v[44:45], v[4:5]
	s_delay_alu instid0(VALU_DEP_1) | instskip(NEXT) | instid1(VALU_DEP_1)
	v_div_fmas_f64 v[4:5], v[4:5], v[48:49], v[44:45]
	v_div_fixup_f64 v[4:5], v[4:5], |v[38:39]|, |v[30:31]|
	s_delay_alu instid0(VALU_DEP_1) | instskip(NEXT) | instid1(VALU_DEP_1)
	v_fma_f64 v[4:5], v[4:5], v[4:5], 1.0
	v_cmp_gt_f64_e32 vcc_lo, 0x10000000, v[4:5]
	v_cndmask_b32_e64 v29, 0, 0x100, vcc_lo
	s_delay_alu instid0(VALU_DEP_1) | instskip(SKIP_1) | instid1(VALU_DEP_2)
	v_ldexp_f64 v[4:5], v[4:5], v29
	v_cndmask_b32_e64 v29, 0, 0xffffff80, vcc_lo
	v_rsq_f64_e32 v[44:45], v[4:5]
	v_cmp_class_f64_e64 vcc_lo, v[4:5], 0x260
	s_delay_alu instid0(TRANS32_DEP_1) | instskip(SKIP_1) | instid1(VALU_DEP_1)
	v_mul_f64_e32 v[46:47], v[4:5], v[44:45]
	v_mul_f64_e32 v[44:45], 0.5, v[44:45]
	v_fma_f64 v[48:49], -v[44:45], v[46:47], 0.5
	s_delay_alu instid0(VALU_DEP_1) | instskip(SKIP_1) | instid1(VALU_DEP_2)
	v_fmac_f64_e32 v[46:47], v[46:47], v[48:49]
	v_fmac_f64_e32 v[44:45], v[44:45], v[48:49]
	v_fma_f64 v[48:49], -v[46:47], v[46:47], v[4:5]
	s_delay_alu instid0(VALU_DEP_1) | instskip(NEXT) | instid1(VALU_DEP_1)
	v_fmac_f64_e32 v[46:47], v[48:49], v[44:45]
	v_fma_f64 v[48:49], -v[46:47], v[46:47], v[4:5]
	s_delay_alu instid0(VALU_DEP_1) | instskip(NEXT) | instid1(VALU_DEP_1)
	v_fmac_f64_e32 v[46:47], v[48:49], v[44:45]
	v_ldexp_f64 v[44:45], v[46:47], v29
	s_delay_alu instid0(VALU_DEP_1) | instskip(NEXT) | instid1(VALU_DEP_1)
	v_dual_cndmask_b32 v5, v45, v5 :: v_dual_cndmask_b32 v4, v44, v4
	v_mul_f64_e64 v[44:45], |v[38:39]|, v[4:5]
.LBB68_120:                             ;   in Loop: Header=BB68_68 Depth=2
	s_or_b32 exec_lo, exec_lo, s3
	v_cmp_gt_f64_e64 vcc_lo, |v[2:3]|, |v[40:41]|
	v_add_f64_e32 v[48:49], v[40:41], v[2:3]
	s_mov_b32 s33, exec_lo
	v_dual_cndmask_b32 v47, v3, v41 :: v_dual_cndmask_b32 v46, v2, v40
	v_dual_cndmask_b32 v41, v41, v3 :: v_dual_cndmask_b32 v40, v40, v2
                                        ; implicit-def: $vgpr4_vgpr5
	s_delay_alu instid0(VALU_DEP_3)
	v_cmpx_ngt_f64_e32 0, v[48:49]
	s_xor_b32 s33, exec_lo, s33
	s_cbranch_execz .LBB68_126
; %bb.121:                              ;   in Loop: Header=BB68_68 Depth=2
	s_mov_b32 s3, exec_lo
                                        ; implicit-def: $vgpr4_vgpr5
	v_cmpx_nlt_f64_e32 0, v[48:49]
	s_xor_b32 s3, exec_lo, s3
	s_cbranch_execz .LBB68_123
; %bb.122:                              ;   in Loop: Header=BB68_68 Depth=2
	v_mul_f64_e32 v[2:3], 0.5, v[44:45]
	v_mul_f64_e32 v[4:5], -0.5, v[44:45]
                                        ; implicit-def: $vgpr48_vgpr49
                                        ; implicit-def: $vgpr40_vgpr41
                                        ; implicit-def: $vgpr42_vgpr43
                                        ; implicit-def: $vgpr46_vgpr47
.LBB68_123:                             ;   in Loop: Header=BB68_68 Depth=2
	s_and_not1_saveexec_b32 s37, s3
	s_cbranch_execz .LBB68_125
; %bb.124:                              ;   in Loop: Header=BB68_68 Depth=2
	v_add_f64_e32 v[2:3], v[48:49], v[44:45]
	s_delay_alu instid0(VALU_DEP_1) | instskip(NEXT) | instid1(VALU_DEP_1)
	v_mul_f64_e32 v[2:3], 0.5, v[2:3]
	v_div_scale_f64 v[4:5], null, v[2:3], v[2:3], v[40:41]
	v_div_scale_f64 v[48:49], null, v[2:3], v[2:3], v[42:43]
	v_div_scale_f64 v[58:59], vcc_lo, v[40:41], v[2:3], v[40:41]
	s_delay_alu instid0(VALU_DEP_3) | instskip(NEXT) | instid1(VALU_DEP_2)
	v_rcp_f64_e32 v[50:51], v[4:5]
	v_rcp_f64_e32 v[52:53], v[48:49]
	s_delay_alu instid0(TRANS32_DEP_2) | instskip(NEXT) | instid1(TRANS32_DEP_1)
	v_fma_f64 v[54:55], -v[4:5], v[50:51], 1.0
	v_fma_f64 v[56:57], -v[48:49], v[52:53], 1.0
	s_delay_alu instid0(VALU_DEP_2) | instskip(NEXT) | instid1(VALU_DEP_2)
	v_fmac_f64_e32 v[50:51], v[50:51], v[54:55]
	v_fmac_f64_e32 v[52:53], v[52:53], v[56:57]
	s_delay_alu instid0(VALU_DEP_2) | instskip(NEXT) | instid1(VALU_DEP_2)
	v_fma_f64 v[54:55], -v[4:5], v[50:51], 1.0
	v_fma_f64 v[56:57], -v[48:49], v[52:53], 1.0
	s_delay_alu instid0(VALU_DEP_2) | instskip(SKIP_1) | instid1(VALU_DEP_3)
	v_fmac_f64_e32 v[50:51], v[50:51], v[54:55]
	v_div_scale_f64 v[54:55], s3, v[42:43], v[2:3], v[42:43]
	v_fmac_f64_e32 v[52:53], v[52:53], v[56:57]
	s_delay_alu instid0(VALU_DEP_3) | instskip(NEXT) | instid1(VALU_DEP_2)
	v_mul_f64_e32 v[56:57], v[58:59], v[50:51]
	v_mul_f64_e32 v[64:65], v[54:55], v[52:53]
	s_delay_alu instid0(VALU_DEP_2) | instskip(NEXT) | instid1(VALU_DEP_2)
	v_fma_f64 v[4:5], -v[4:5], v[56:57], v[58:59]
	v_fma_f64 v[48:49], -v[48:49], v[64:65], v[54:55]
	s_delay_alu instid0(VALU_DEP_2) | instskip(SKIP_1) | instid1(VALU_DEP_2)
	v_div_fmas_f64 v[4:5], v[4:5], v[50:51], v[56:57]
	s_mov_b32 vcc_lo, s3
	v_div_fmas_f64 v[48:49], v[48:49], v[52:53], v[64:65]
	s_delay_alu instid0(VALU_DEP_2) | instskip(NEXT) | instid1(VALU_DEP_2)
	v_div_fixup_f64 v[4:5], v[4:5], v[2:3], v[40:41]
	v_div_fixup_f64 v[48:49], v[48:49], v[2:3], v[42:43]
	s_delay_alu instid0(VALU_DEP_1) | instskip(NEXT) | instid1(VALU_DEP_1)
	v_mul_f64_e32 v[40:41], v[42:43], v[48:49]
	v_fma_f64 v[4:5], v[46:47], v[4:5], -v[40:41]
.LBB68_125:                             ;   in Loop: Header=BB68_68 Depth=2
	s_or_b32 exec_lo, exec_lo, s37
                                        ; implicit-def: $vgpr48_vgpr49
                                        ; implicit-def: $vgpr40_vgpr41
                                        ; implicit-def: $vgpr42_vgpr43
                                        ; implicit-def: $vgpr46_vgpr47
.LBB68_126:                             ;   in Loop: Header=BB68_68 Depth=2
	s_or_saveexec_b32 s33, s33
	v_mov_b32_e32 v29, 1
	s_xor_b32 exec_lo, exec_lo, s33
	s_cbranch_execz .LBB68_128
; %bb.127:                              ;   in Loop: Header=BB68_68 Depth=2
	v_dual_add_f64 v[2:3], v[48:49], -v[44:45] :: v_dual_mov_b32 v29, -1
	s_delay_alu instid0(VALU_DEP_1) | instskip(NEXT) | instid1(VALU_DEP_1)
	v_mul_f64_e32 v[2:3], 0.5, v[2:3]
	v_div_scale_f64 v[4:5], null, v[2:3], v[2:3], v[40:41]
	v_div_scale_f64 v[48:49], null, v[2:3], v[2:3], v[42:43]
	v_div_scale_f64 v[58:59], vcc_lo, v[40:41], v[2:3], v[40:41]
	s_delay_alu instid0(VALU_DEP_3) | instskip(NEXT) | instid1(VALU_DEP_2)
	v_rcp_f64_e32 v[50:51], v[4:5]
	v_rcp_f64_e32 v[52:53], v[48:49]
	s_delay_alu instid0(TRANS32_DEP_2) | instskip(NEXT) | instid1(TRANS32_DEP_1)
	v_fma_f64 v[54:55], -v[4:5], v[50:51], 1.0
	v_fma_f64 v[56:57], -v[48:49], v[52:53], 1.0
	s_delay_alu instid0(VALU_DEP_2) | instskip(NEXT) | instid1(VALU_DEP_2)
	v_fmac_f64_e32 v[50:51], v[50:51], v[54:55]
	v_fmac_f64_e32 v[52:53], v[52:53], v[56:57]
	s_delay_alu instid0(VALU_DEP_2) | instskip(NEXT) | instid1(VALU_DEP_2)
	v_fma_f64 v[54:55], -v[4:5], v[50:51], 1.0
	v_fma_f64 v[56:57], -v[48:49], v[52:53], 1.0
	s_delay_alu instid0(VALU_DEP_2) | instskip(SKIP_1) | instid1(VALU_DEP_3)
	v_fmac_f64_e32 v[50:51], v[50:51], v[54:55]
	v_div_scale_f64 v[54:55], s3, v[42:43], v[2:3], v[42:43]
	v_fmac_f64_e32 v[52:53], v[52:53], v[56:57]
	s_delay_alu instid0(VALU_DEP_3) | instskip(NEXT) | instid1(VALU_DEP_2)
	v_mul_f64_e32 v[56:57], v[58:59], v[50:51]
	v_mul_f64_e32 v[64:65], v[54:55], v[52:53]
	s_delay_alu instid0(VALU_DEP_2) | instskip(NEXT) | instid1(VALU_DEP_2)
	v_fma_f64 v[4:5], -v[4:5], v[56:57], v[58:59]
	v_fma_f64 v[48:49], -v[48:49], v[64:65], v[54:55]
	s_delay_alu instid0(VALU_DEP_2) | instskip(SKIP_1) | instid1(VALU_DEP_2)
	v_div_fmas_f64 v[4:5], v[4:5], v[50:51], v[56:57]
	s_mov_b32 vcc_lo, s3
	v_div_fmas_f64 v[48:49], v[48:49], v[52:53], v[64:65]
	s_delay_alu instid0(VALU_DEP_2) | instskip(NEXT) | instid1(VALU_DEP_2)
	v_div_fixup_f64 v[4:5], v[4:5], v[2:3], v[40:41]
	v_div_fixup_f64 v[48:49], v[48:49], v[2:3], v[42:43]
	s_delay_alu instid0(VALU_DEP_1) | instskip(NEXT) | instid1(VALU_DEP_1)
	v_mul_f64_e32 v[40:41], v[42:43], v[48:49]
	v_fma_f64 v[4:5], v[46:47], v[4:5], -v[40:41]
.LBB68_128:                             ;   in Loop: Header=BB68_68 Depth=2
	s_or_b32 exec_lo, exec_lo, s33
	s_delay_alu instid0(SALU_CYCLE_1)
	s_mov_b32 s3, exec_lo
                                        ; implicit-def: $vgpr40_vgpr41
	v_cmpx_le_f64_e32 0, v[38:39]
	s_xor_b32 s3, exec_lo, s3
; %bb.129:                              ;   in Loop: Header=BB68_68 Depth=2
	v_add_f64_e32 v[40:41], v[38:39], v[44:45]
                                        ; implicit-def: $vgpr44_vgpr45
                                        ; implicit-def: $vgpr38_vgpr39
; %bb.130:                              ;   in Loop: Header=BB68_68 Depth=2
	s_or_saveexec_b32 s3, s3
	v_mov_b32_e32 v46, 1
	s_xor_b32 exec_lo, exec_lo, s3
; %bb.131:                              ;   in Loop: Header=BB68_68 Depth=2
	v_dual_add_f64 v[40:41], v[38:39], -v[44:45] :: v_dual_mov_b32 v46, -1
; %bb.132:                              ;   in Loop: Header=BB68_68 Depth=2
	s_or_b32 exec_lo, exec_lo, s3
	s_delay_alu instid0(VALU_DEP_1) | instskip(SKIP_1) | instid1(SALU_CYCLE_1)
	v_cmp_ngt_f64_e64 s3, |v[40:41]|, |v[30:31]|
                                        ; implicit-def: $vgpr38_vgpr39
                                        ; implicit-def: $vgpr42_vgpr43
	s_and_saveexec_b32 s33, s3
	s_xor_b32 s3, exec_lo, s33
	s_cbranch_execz .LBB68_136
; %bb.133:                              ;   in Loop: Header=BB68_68 Depth=2
	v_mov_b64_e32 v[38:39], 0
	v_mov_b64_e32 v[42:43], 1.0
	s_mov_b32 s33, exec_lo
	v_cmpx_neq_f64_e32 0, v[30:31]
	s_cbranch_execz .LBB68_135
; %bb.134:                              ;   in Loop: Header=BB68_68 Depth=2
	v_div_scale_f64 v[38:39], null, v[30:31], v[30:31], -v[40:41]
	v_div_scale_f64 v[48:49], vcc_lo, -v[40:41], v[30:31], -v[40:41]
	s_delay_alu instid0(VALU_DEP_2) | instskip(SKIP_1) | instid1(TRANS32_DEP_1)
	v_rcp_f64_e32 v[42:43], v[38:39]
	v_nop
	v_fma_f64 v[44:45], -v[38:39], v[42:43], 1.0
	s_delay_alu instid0(VALU_DEP_1) | instskip(NEXT) | instid1(VALU_DEP_1)
	v_fmac_f64_e32 v[42:43], v[42:43], v[44:45]
	v_fma_f64 v[44:45], -v[38:39], v[42:43], 1.0
	s_delay_alu instid0(VALU_DEP_1) | instskip(NEXT) | instid1(VALU_DEP_1)
	v_fmac_f64_e32 v[42:43], v[42:43], v[44:45]
	v_mul_f64_e32 v[44:45], v[48:49], v[42:43]
	s_delay_alu instid0(VALU_DEP_1) | instskip(NEXT) | instid1(VALU_DEP_1)
	v_fma_f64 v[38:39], -v[38:39], v[44:45], v[48:49]
	v_div_fmas_f64 v[38:39], v[38:39], v[42:43], v[44:45]
	s_delay_alu instid0(VALU_DEP_1) | instskip(NEXT) | instid1(VALU_DEP_1)
	v_div_fixup_f64 v[30:31], v[38:39], v[30:31], -v[40:41]
	v_fma_f64 v[38:39], v[30:31], v[30:31], 1.0
	s_delay_alu instid0(VALU_DEP_1) | instskip(SKIP_1) | instid1(VALU_DEP_1)
	v_cmp_gt_f64_e32 vcc_lo, 0x10000000, v[38:39]
	v_cndmask_b32_e64 v33, 0, 0x100, vcc_lo
	v_ldexp_f64 v[38:39], v[38:39], v33
	v_cndmask_b32_e64 v33, 0, 0xffffff80, vcc_lo
	s_delay_alu instid0(VALU_DEP_2) | instskip(SKIP_1) | instid1(TRANS32_DEP_1)
	v_rsq_f64_e32 v[40:41], v[38:39]
	v_cmp_class_f64_e64 vcc_lo, v[38:39], 0x260
	v_mul_f64_e32 v[42:43], v[38:39], v[40:41]
	v_mul_f64_e32 v[40:41], 0.5, v[40:41]
	s_delay_alu instid0(VALU_DEP_1) | instskip(NEXT) | instid1(VALU_DEP_1)
	v_fma_f64 v[44:45], -v[40:41], v[42:43], 0.5
	v_fmac_f64_e32 v[42:43], v[42:43], v[44:45]
	v_fmac_f64_e32 v[40:41], v[40:41], v[44:45]
	s_delay_alu instid0(VALU_DEP_2) | instskip(NEXT) | instid1(VALU_DEP_1)
	v_fma_f64 v[44:45], -v[42:43], v[42:43], v[38:39]
	v_fmac_f64_e32 v[42:43], v[44:45], v[40:41]
	s_delay_alu instid0(VALU_DEP_1) | instskip(NEXT) | instid1(VALU_DEP_1)
	v_fma_f64 v[44:45], -v[42:43], v[42:43], v[38:39]
	v_fmac_f64_e32 v[42:43], v[44:45], v[40:41]
	s_delay_alu instid0(VALU_DEP_1) | instskip(NEXT) | instid1(VALU_DEP_1)
	v_ldexp_f64 v[40:41], v[42:43], v33
	v_dual_cndmask_b32 v39, v41, v39 :: v_dual_cndmask_b32 v38, v40, v38
	s_delay_alu instid0(VALU_DEP_1) | instskip(NEXT) | instid1(VALU_DEP_1)
	v_div_scale_f64 v[40:41], null, v[38:39], v[38:39], 1.0
	v_rcp_f64_e32 v[42:43], v[40:41]
	v_nop
	s_delay_alu instid0(TRANS32_DEP_1) | instskip(NEXT) | instid1(VALU_DEP_1)
	v_fma_f64 v[44:45], -v[40:41], v[42:43], 1.0
	v_fmac_f64_e32 v[42:43], v[42:43], v[44:45]
	s_delay_alu instid0(VALU_DEP_1) | instskip(NEXT) | instid1(VALU_DEP_1)
	v_fma_f64 v[44:45], -v[40:41], v[42:43], 1.0
	v_fmac_f64_e32 v[42:43], v[42:43], v[44:45]
	v_div_scale_f64 v[44:45], vcc_lo, 1.0, v[38:39], 1.0
	s_delay_alu instid0(VALU_DEP_1) | instskip(NEXT) | instid1(VALU_DEP_1)
	v_mul_f64_e32 v[48:49], v[44:45], v[42:43]
	v_fma_f64 v[40:41], -v[40:41], v[48:49], v[44:45]
	s_delay_alu instid0(VALU_DEP_1) | instskip(NEXT) | instid1(VALU_DEP_1)
	v_div_fmas_f64 v[40:41], v[40:41], v[42:43], v[48:49]
	v_div_fixup_f64 v[42:43], v[40:41], v[38:39], 1.0
	s_delay_alu instid0(VALU_DEP_1)
	v_mul_f64_e32 v[38:39], v[30:31], v[42:43]
.LBB68_135:                             ;   in Loop: Header=BB68_68 Depth=2
	s_or_b32 exec_lo, exec_lo, s33
                                        ; implicit-def: $vgpr40_vgpr41
                                        ; implicit-def: $vgpr30_vgpr31
.LBB68_136:                             ;   in Loop: Header=BB68_68 Depth=2
	s_and_not1_saveexec_b32 s3, s3
	s_cbranch_execz .LBB68_138
; %bb.137:                              ;   in Loop: Header=BB68_68 Depth=2
	v_div_scale_f64 v[38:39], null, v[40:41], v[40:41], -v[30:31]
	v_div_scale_f64 v[48:49], vcc_lo, -v[30:31], v[40:41], -v[30:31]
	s_delay_alu instid0(VALU_DEP_2) | instskip(SKIP_1) | instid1(TRANS32_DEP_1)
	v_rcp_f64_e32 v[42:43], v[38:39]
	v_nop
	v_fma_f64 v[44:45], -v[38:39], v[42:43], 1.0
	s_delay_alu instid0(VALU_DEP_1) | instskip(NEXT) | instid1(VALU_DEP_1)
	v_fmac_f64_e32 v[42:43], v[42:43], v[44:45]
	v_fma_f64 v[44:45], -v[38:39], v[42:43], 1.0
	s_delay_alu instid0(VALU_DEP_1) | instskip(NEXT) | instid1(VALU_DEP_1)
	v_fmac_f64_e32 v[42:43], v[42:43], v[44:45]
	v_mul_f64_e32 v[44:45], v[48:49], v[42:43]
	s_delay_alu instid0(VALU_DEP_1) | instskip(NEXT) | instid1(VALU_DEP_1)
	v_fma_f64 v[38:39], -v[38:39], v[44:45], v[48:49]
	v_div_fmas_f64 v[38:39], v[38:39], v[42:43], v[44:45]
	s_delay_alu instid0(VALU_DEP_1) | instskip(NEXT) | instid1(VALU_DEP_1)
	v_div_fixup_f64 v[30:31], v[38:39], v[40:41], -v[30:31]
	v_fma_f64 v[38:39], v[30:31], v[30:31], 1.0
	s_delay_alu instid0(VALU_DEP_1) | instskip(SKIP_1) | instid1(VALU_DEP_1)
	v_cmp_gt_f64_e32 vcc_lo, 0x10000000, v[38:39]
	v_cndmask_b32_e64 v33, 0, 0x100, vcc_lo
	v_ldexp_f64 v[38:39], v[38:39], v33
	v_cndmask_b32_e64 v33, 0, 0xffffff80, vcc_lo
	s_delay_alu instid0(VALU_DEP_2) | instskip(SKIP_1) | instid1(TRANS32_DEP_1)
	v_rsq_f64_e32 v[40:41], v[38:39]
	v_cmp_class_f64_e64 vcc_lo, v[38:39], 0x260
	v_mul_f64_e32 v[42:43], v[38:39], v[40:41]
	v_mul_f64_e32 v[40:41], 0.5, v[40:41]
	s_delay_alu instid0(VALU_DEP_1) | instskip(NEXT) | instid1(VALU_DEP_1)
	v_fma_f64 v[44:45], -v[40:41], v[42:43], 0.5
	v_fmac_f64_e32 v[42:43], v[42:43], v[44:45]
	v_fmac_f64_e32 v[40:41], v[40:41], v[44:45]
	s_delay_alu instid0(VALU_DEP_2) | instskip(NEXT) | instid1(VALU_DEP_1)
	v_fma_f64 v[44:45], -v[42:43], v[42:43], v[38:39]
	v_fmac_f64_e32 v[42:43], v[44:45], v[40:41]
	s_delay_alu instid0(VALU_DEP_1) | instskip(NEXT) | instid1(VALU_DEP_1)
	v_fma_f64 v[44:45], -v[42:43], v[42:43], v[38:39]
	v_fmac_f64_e32 v[42:43], v[44:45], v[40:41]
	s_delay_alu instid0(VALU_DEP_1) | instskip(NEXT) | instid1(VALU_DEP_1)
	v_ldexp_f64 v[40:41], v[42:43], v33
	v_dual_cndmask_b32 v39, v41, v39 :: v_dual_cndmask_b32 v38, v40, v38
	s_delay_alu instid0(VALU_DEP_1) | instskip(NEXT) | instid1(VALU_DEP_1)
	v_div_scale_f64 v[40:41], null, v[38:39], v[38:39], 1.0
	v_rcp_f64_e32 v[42:43], v[40:41]
	v_nop
	s_delay_alu instid0(TRANS32_DEP_1) | instskip(NEXT) | instid1(VALU_DEP_1)
	v_fma_f64 v[44:45], -v[40:41], v[42:43], 1.0
	v_fmac_f64_e32 v[42:43], v[42:43], v[44:45]
	s_delay_alu instid0(VALU_DEP_1) | instskip(NEXT) | instid1(VALU_DEP_1)
	v_fma_f64 v[44:45], -v[40:41], v[42:43], 1.0
	v_fmac_f64_e32 v[42:43], v[42:43], v[44:45]
	v_div_scale_f64 v[44:45], vcc_lo, 1.0, v[38:39], 1.0
	s_delay_alu instid0(VALU_DEP_1) | instskip(NEXT) | instid1(VALU_DEP_1)
	v_mul_f64_e32 v[48:49], v[44:45], v[42:43]
	v_fma_f64 v[40:41], -v[40:41], v[48:49], v[44:45]
	s_delay_alu instid0(VALU_DEP_1) | instskip(NEXT) | instid1(VALU_DEP_1)
	v_div_fmas_f64 v[40:41], v[40:41], v[42:43], v[48:49]
	v_div_fixup_f64 v[38:39], v[40:41], v[38:39], 1.0
	s_delay_alu instid0(VALU_DEP_1)
	v_mul_f64_e32 v[42:43], v[30:31], v[38:39]
.LBB68_138:                             ;   in Loop: Header=BB68_68 Depth=2
	s_or_b32 exec_lo, exec_lo, s3
	v_cmp_eq_u32_e32 vcc_lo, v29, v46
	v_ashrrev_i32_e32 v33, 31, v32
	s_delay_alu instid0(VALU_DEP_3) | instskip(SKIP_2) | instid1(VALU_DEP_4)
	v_xor_b32_e32 v40, 0x80000000, v39
	v_lshl_add_u64 v[36:37], v[36:37], 3, s[46:47]
	v_dual_cndmask_b32 v39, v39, v43 :: v_dual_add_nc_u32 v28, -2, v28
	v_lshl_add_u64 v[30:31], v[32:33], 3, s[50:51]
	s_delay_alu instid0(VALU_DEP_4) | instskip(SKIP_1) | instid1(VALU_DEP_3)
	v_dual_cndmask_b32 v33, v43, v40 :: v_dual_cndmask_b32 v32, v42, v38
	v_cndmask_b32_e32 v38, v38, v42, vcc_lo
	v_lshl_add_u64 v[40:41], s[6:7], 3, v[30:31]
	s_clause 0x1
	global_store_b64 v[30:31], v[32:33], off
	global_store_b64 v[40:41], v[38:39], off offset:-8
	global_store_b128 v[34:35], v[2:5], off offset:-8
	global_store_b64 v[36:37], v[12:13], off offset:-8
	ds_store_b32 v60, v28 offset:16
	s_wait_xcnt 0x0
	s_or_b32 exec_lo, exec_lo, s31
                                        ; implicit-def: $vgpr2
.LBB68_139:                             ;   in Loop: Header=BB68_68 Depth=2
	s_and_not1_saveexec_b32 s3, s10
.LBB68_140:                             ;   in Loop: Header=BB68_68 Depth=2
	ds_store_b32 v60, v2 offset:16
.LBB68_141:                             ;   in Loop: Header=BB68_68 Depth=2
	s_or_b32 exec_lo, exec_lo, s3
.LBB68_142:                             ;   in Loop: Header=BB68_68 Depth=2
	s_delay_alu instid0(SALU_CYCLE_1)
	s_or_b32 exec_lo, exec_lo, s5
	s_wait_storecnt_dscnt 0x0
	s_barrier_signal -1
	s_barrier_wait -1
	ds_load_b64 v[2:3], v60 offset:16
	s_wait_dscnt 0x0
	v_readfirstlane_b32 s80, v3
	s_delay_alu instid0(VALU_DEP_1)
	v_cmp_eq_u32_e32 vcc_lo, s80, v2
	v_mov_b32_e32 v28, s80
	s_cbranch_vccnz .LBB68_67
; %bb.143:                              ;   in Loop: Header=BB68_68 Depth=2
	s_and_saveexec_b32 s3, s2
	s_cbranch_execz .LBB68_66
; %bb.144:                              ;   in Loop: Header=BB68_68 Depth=2
	ds_load_b32 v2, v60 offset:28
	s_mul_i32 s82, s80, s11
	s_ashr_i32 s81, s80, 31
	s_ashr_i32 s83, s82, 31
	s_lshl_b64 s[78:79], s[80:81], 3
	s_lshl_b64 s[84:85], s[82:83], 4
	v_mov_b32_e32 v30, v6
	v_add_nc_u64_e32 v[28:29], s[84:85], v[10:11]
	s_add_nc_u64 s[82:83], s[48:49], s[84:85]
	s_add_nc_u64 s[78:79], s[50:51], s[78:79]
	s_mov_b32 s10, 0
	s_wait_dscnt 0x0
	v_readfirstlane_b32 s5, v2
	s_sub_co_i32 s80, s5, s80
	s_delay_alu instid0(SALU_CYCLE_1) | instskip(SKIP_2) | instid1(SALU_CYCLE_1)
	s_cmp_gt_i32 s80, 0
	s_cselect_b32 s5, -1, 0
	s_ashr_i32 s81, s80, 31
	s_mul_u64 s[84:85], s[80:81], s[52:53]
	s_delay_alu instid0(SALU_CYCLE_1) | instskip(NEXT) | instid1(SALU_CYCLE_1)
	s_lshl_b64 s[84:85], s[84:85], 4
	s_add_nc_u64 s[84:85], s[82:83], s[84:85]
	s_branch .LBB68_146
.LBB68_145:                             ;   in Loop: Header=BB68_146 Depth=3
	v_ashrrev_i32_e32 v31, 31, v30
	v_add_nc_u64_e32 v[28:29], s[70:71], v[28:29]
	s_delay_alu instid0(VALU_DEP_2)
	v_lshl_add_u64 v[32:33], v[30:31], 4, s[84:85]
	s_wait_xcnt 0x0
	v_add_nc_u32_e32 v30, s36, v30
	s_wait_loadcnt 0x0
	global_store_b128 v[32:33], v[2:5], off
	v_cmp_le_i32_e32 vcc_lo, s6, v30
	s_or_b32 s10, vcc_lo, s10
	s_wait_xcnt 0x0
	s_and_not1_b32 exec_lo, exec_lo, s10
	s_cbranch_execz .LBB68_66
.LBB68_146:                             ;   Parent Loop BB68_7 Depth=1
                                        ;     Parent Loop BB68_68 Depth=2
                                        ; =>    This Loop Header: Depth=3
                                        ;         Child Loop BB68_147 Depth 4
	global_load_b128 v[2:5], v30, s[82:83] scale_offset
	v_mov_b64_e32 v[32:33], v[28:29]
	s_and_not1_b32 vcc_lo, exec_lo, s5
	s_mov_b64 s[86:87], s[78:79]
	s_mov_b32 s31, s80
	s_cbranch_vccnz .LBB68_145
.LBB68_147:                             ;   Parent Loop BB68_7 Depth=1
                                        ;     Parent Loop BB68_68 Depth=2
                                        ;       Parent Loop BB68_146 Depth=3
                                        ; =>      This Inner Loop Header: Depth=4
	s_delay_alu instid0(VALU_DEP_1)
	v_add_nc_u64_e32 v[42:43], s[68:69], v[32:33]
	s_add_nc_u64 s[88:89], s[86:87], s[64:65]
	s_add_co_i32 s31, s31, -1
	global_load_b128 v[34:37], v[42:43], off offset:-8
	s_clause 0x1
	global_load_b64 v[44:45], v60, s[88:89]
	global_load_b64 v[46:47], v60, s[86:87]
	s_cmp_eq_u32 s31, 0
	s_wait_xcnt 0x0
	s_add_nc_u64 s[86:87], s[86:87], 8
	s_wait_loadcnt 0x1
	v_mul_f64_e32 v[38:39], v[44:45], v[34:35]
	v_mul_f64_e32 v[40:41], v[44:45], v[36:37]
	;; [unrolled: 1-line block ×4, first 2 shown]
	s_wait_loadcnt 0x0
	s_delay_alu instid0(VALU_DEP_4) | instskip(NEXT) | instid1(VALU_DEP_4)
	v_fmac_f64_e32 v[38:39], v[2:3], v[46:47]
	v_fmac_f64_e32 v[40:41], v[4:5], v[46:47]
	s_delay_alu instid0(VALU_DEP_4) | instskip(NEXT) | instid1(VALU_DEP_4)
	v_fma_f64 v[2:3], v[46:47], v[34:35], -v[48:49]
	v_fma_f64 v[4:5], v[46:47], v[36:37], -v[44:45]
	global_store_b128 v[32:33], v[38:41], off offset:-8
	s_wait_xcnt 0x0
	v_mov_b64_e32 v[32:33], v[42:43]
	s_cbranch_scc0 .LBB68_147
	s_branch .LBB68_145
.LBB68_148:                             ;   in Loop: Header=BB68_68 Depth=2
	s_or_b32 exec_lo, exec_lo, s31
                                        ; implicit-def: $vgpr2
	s_and_not1_saveexec_b32 s3, s10
	s_cbranch_execnz .LBB68_140
	s_branch .LBB68_141
.LBB68_149:                             ;   in Loop: Header=BB68_151 Depth=2
	s_or_b32 exec_lo, exec_lo, s5
	s_wait_storecnt 0x0
	s_barrier_signal -1
	s_barrier_wait -1
	ds_load_b32 v36, v60 offset:16
.LBB68_150:                             ;   in Loop: Header=BB68_151 Depth=2
	ds_load_b64 v[42:43], v60 offset:32
	s_wait_dscnt 0x0
	v_cmp_le_i32_e32 vcc_lo, v36, v42
	v_cmp_gt_i32_e64 s5, s30, v43
	s_and_b32 s5, vcc_lo, s5
	s_delay_alu instid0(SALU_CYCLE_1)
	s_and_not1_b32 vcc_lo, exec_lo, s5
	s_cbranch_vccnz .LBB68_50
.LBB68_151:                             ;   Parent Loop BB68_7 Depth=1
                                        ; =>  This Loop Header: Depth=2
                                        ;       Child Loop BB68_157 Depth 3
                                        ;       Child Loop BB68_177 Depth 3
	;; [unrolled: 1-line block ×3, first 2 shown]
                                        ;         Child Loop BB68_229 Depth 4
	s_and_saveexec_b32 s10, s4
	s_cbranch_execz .LBB68_224
; %bb.152:                              ;   in Loop: Header=BB68_151 Depth=2
	v_cmp_lt_i32_e32 vcc_lo, v36, v42
	s_mov_b32 s5, 0
	s_cbranch_vccnz .LBB68_154
; %bb.153:                              ;   in Loop: Header=BB68_151 Depth=2
	v_ashrrev_i32_e32 v37, 31, v36
	s_mov_b32 s31, -1
	s_delay_alu instid0(VALU_DEP_1)
	v_mov_b64_e32 v[40:41], v[36:37]
	v_mov_b32_e32 v2, v36
	s_cbranch_execz .LBB68_155
	s_branch .LBB68_160
.LBB68_154:                             ;   in Loop: Header=BB68_151 Depth=2
	s_mov_b32 s31, 0
                                        ; implicit-def: $vgpr40_vgpr41
	v_mov_b32_e32 v2, v36
.LBB68_155:                             ;   in Loop: Header=BB68_151 Depth=2
	v_dual_mov_b32 v34, v36 :: v_dual_ashrrev_i32 v37, 31, v36
	s_delay_alu instid0(VALU_DEP_1) | instskip(NEXT) | instid1(VALU_DEP_1)
	v_lshlrev_b64_e32 v[2:3], 3, v[36:37]
	v_add_nc_u64_e32 v[4:5], s[46:47], v[2:3]
	v_add_nc_u64_e32 v[2:3], s[54:55], v[2:3]
	s_branch .LBB68_157
.LBB68_156:                             ;   in Loop: Header=BB68_157 Depth=3
	v_add_nc_u32_e32 v34, 1, v29
	v_add_nc_u64_e32 v[4:5], 8, v[32:33]
	v_add_nc_u64_e32 v[2:3], 8, v[2:3]
	s_mov_b32 s5, 0
	s_delay_alu instid0(VALU_DEP_3)
	v_cmp_ge_i32_e64 s31, v34, v42
	s_and_not1_b32 vcc_lo, exec_lo, s31
	s_cbranch_vccz .LBB68_159
.LBB68_157:                             ;   Parent Loop BB68_7 Depth=1
                                        ;     Parent Loop BB68_151 Depth=2
                                        ; =>    This Inner Loop Header: Depth=3
	global_load_b128 v[38:41], v[2:3], off
	v_mov_b64_e32 v[32:33], v[4:5]
	global_load_b64 v[4:5], v[4:5], off
	v_mov_b32_e32 v29, v34
	s_wait_loadcnt 0x1
	v_mul_f64_e32 v[38:39], v[38:39], v[40:41]
	s_wait_loadcnt 0x0
	v_mul_f64_e32 v[4:5], v[4:5], v[4:5]
	s_delay_alu instid0(VALU_DEP_2) | instskip(NEXT) | instid1(VALU_DEP_1)
	v_mul_f64_e64 v[38:39], v[8:9], |v[38:39]|
	v_cmp_le_f64_e64 s5, |v[4:5]|, v[38:39]
	s_and_b32 vcc_lo, exec_lo, s5
	s_cbranch_vccz .LBB68_156
; %bb.158:                              ;   in Loop: Header=BB68_151 Depth=2
	s_mov_b32 s5, -1
                                        ; implicit-def: $vgpr34
                                        ; implicit-def: $vgpr4_vgpr5
                                        ; implicit-def: $vgpr2_vgpr3
.LBB68_159:                             ;   in Loop: Header=BB68_151 Depth=2
	v_mov_b64_e32 v[34:35], v[36:37]
	v_mov_b64_e32 v[40:41], v[36:37]
	v_mov_b32_e32 v2, v42
	s_xor_b32 s31, s5, -1
	s_mov_b32 s5, -1
.LBB68_160:                             ;   in Loop: Header=BB68_151 Depth=2
	s_and_b32 vcc_lo, exec_lo, s31
	s_cbranch_vccnz .LBB68_189
; %bb.161:                              ;   in Loop: Header=BB68_151 Depth=2
	s_and_not1_b32 vcc_lo, exec_lo, s5
	s_cbranch_vccnz .LBB68_163
.LBB68_162:                             ;   in Loop: Header=BB68_151 Depth=2
	v_mov_b64_e32 v[40:41], v[34:35]
	v_mov_b32_e32 v2, v29
	ds_store_2addr_b32 v60, v29, v36 offset0:5 offset1:7
	global_store_b64 v[32:33], v[12:13], off
.LBB68_163:                             ;   in Loop: Header=BB68_151 Depth=2
	v_lshl_add_u64 v[38:39], v[40:41], 3, s[18:19]
	v_add_nc_u32_e32 v3, 1, v36
	s_mov_b32 s5, exec_lo
	global_load_b64 v[48:49], v[38:39], off
	s_wait_loadcnt 0x0
	ds_store_b64 v60, v[48:49]
	s_wait_xcnt 0x0
	v_cmpx_ne_u32_e64 v2, v36
	s_xor_b32 s31, exec_lo, s5
	s_cbranch_execz .LBB68_221
; %bb.164:                              ;   in Loop: Header=BB68_151 Depth=2
	s_mov_b32 s5, exec_lo
	v_cmpx_ne_u32_e64 v2, v3
	s_xor_b32 s5, exec_lo, s5
	s_cbranch_execz .LBB68_193
; %bb.165:                              ;   in Loop: Header=BB68_151 Depth=2
	v_lshl_add_u64 v[4:5], v[40:41], 3, s[46:47]
	s_mov_b32 s33, exec_lo
	global_load_b64 v[40:41], v[38:39], off offset:8
	global_load_b64 v[44:45], v[4:5], off
	global_load_b64 v[46:47], v2, s[18:19] scale_offset
	s_wait_loadcnt 0x2
	v_add_f64_e64 v[40:41], v[40:41], -v[48:49]
	s_wait_loadcnt 0x1
	v_add_f64_e32 v[50:51], v[44:45], v[44:45]
	s_delay_alu instid0(VALU_DEP_1) | instskip(SKIP_1) | instid1(VALU_DEP_2)
	v_div_scale_f64 v[52:53], null, v[50:51], v[50:51], v[40:41]
	v_div_scale_f64 v[58:59], vcc_lo, v[40:41], v[50:51], v[40:41]
	v_rcp_f64_e32 v[54:55], v[52:53]
	v_nop
	s_delay_alu instid0(TRANS32_DEP_1) | instskip(NEXT) | instid1(VALU_DEP_1)
	v_fma_f64 v[56:57], -v[52:53], v[54:55], 1.0
	v_fmac_f64_e32 v[54:55], v[54:55], v[56:57]
	s_delay_alu instid0(VALU_DEP_1) | instskip(NEXT) | instid1(VALU_DEP_1)
	v_fma_f64 v[56:57], -v[52:53], v[54:55], 1.0
	v_fmac_f64_e32 v[54:55], v[54:55], v[56:57]
	s_delay_alu instid0(VALU_DEP_1) | instskip(NEXT) | instid1(VALU_DEP_1)
	v_mul_f64_e32 v[56:57], v[58:59], v[54:55]
	v_fma_f64 v[52:53], -v[52:53], v[56:57], v[58:59]
	s_delay_alu instid0(VALU_DEP_1) | instskip(NEXT) | instid1(VALU_DEP_1)
	v_div_fmas_f64 v[52:53], v[52:53], v[54:55], v[56:57]
	v_div_fixup_f64 v[40:41], v[52:53], v[50:51], v[40:41]
	s_delay_alu instid0(VALU_DEP_1) | instskip(NEXT) | instid1(VALU_DEP_1)
	v_fma_f64 v[50:51], v[40:41], v[40:41], 1.0
	v_cmp_gt_f64_e32 vcc_lo, 0x10000000, v[50:51]
	v_cndmask_b32_e64 v3, 0, 0x100, vcc_lo
	s_delay_alu instid0(VALU_DEP_1) | instskip(SKIP_1) | instid1(VALU_DEP_2)
	v_ldexp_f64 v[50:51], v[50:51], v3
	v_cndmask_b32_e64 v3, 0, 0xffffff80, vcc_lo
	v_rsq_f64_e32 v[52:53], v[50:51]
	v_cmp_class_f64_e64 vcc_lo, v[50:51], 0x260
	s_delay_alu instid0(TRANS32_DEP_1) | instskip(SKIP_1) | instid1(VALU_DEP_1)
	v_mul_f64_e32 v[54:55], v[50:51], v[52:53]
	v_mul_f64_e32 v[52:53], 0.5, v[52:53]
	v_fma_f64 v[56:57], -v[52:53], v[54:55], 0.5
	s_delay_alu instid0(VALU_DEP_1) | instskip(SKIP_1) | instid1(VALU_DEP_2)
	v_fmac_f64_e32 v[54:55], v[54:55], v[56:57]
	v_fmac_f64_e32 v[52:53], v[52:53], v[56:57]
	v_fma_f64 v[56:57], -v[54:55], v[54:55], v[50:51]
	s_delay_alu instid0(VALU_DEP_1) | instskip(NEXT) | instid1(VALU_DEP_1)
	v_fmac_f64_e32 v[54:55], v[56:57], v[52:53]
	v_fma_f64 v[56:57], -v[54:55], v[54:55], v[50:51]
	s_delay_alu instid0(VALU_DEP_1) | instskip(NEXT) | instid1(VALU_DEP_1)
	v_fmac_f64_e32 v[54:55], v[56:57], v[52:53]
	v_ldexp_f64 v[52:53], v[54:55], v3
	s_delay_alu instid0(VALU_DEP_1) | instskip(SKIP_1) | instid1(VALU_DEP_2)
	v_dual_cndmask_b32 v3, v53, v51 :: v_dual_cndmask_b32 v50, v52, v50
	v_cmp_nle_f64_e32 vcc_lo, 0, v[40:41]
	v_and_b32_e32 v37, 0x7fffffff, v3
	v_or_b32_e32 v3, 0x80000000, v3
	s_delay_alu instid0(VALU_DEP_1) | instskip(SKIP_4) | instid1(VALU_DEP_1)
	v_cndmask_b32_e32 v51, v37, v3, vcc_lo
	v_add_nc_u32_e32 v3, 1, v43
	ds_store_b32 v60, v3 offset:36
	ds_store_b64 v60, v[12:13]
	v_add_f64_e32 v[40:41], v[40:41], v[50:51]
	v_div_scale_f64 v[50:51], null, v[40:41], v[40:41], v[44:45]
	s_delay_alu instid0(VALU_DEP_1) | instskip(SKIP_1) | instid1(TRANS32_DEP_1)
	v_rcp_f64_e32 v[52:53], v[50:51]
	v_nop
	v_fma_f64 v[54:55], -v[50:51], v[52:53], 1.0
	s_delay_alu instid0(VALU_DEP_1) | instskip(NEXT) | instid1(VALU_DEP_1)
	v_fmac_f64_e32 v[52:53], v[52:53], v[54:55]
	v_fma_f64 v[54:55], -v[50:51], v[52:53], 1.0
	s_delay_alu instid0(VALU_DEP_1) | instskip(SKIP_1) | instid1(VALU_DEP_1)
	v_fmac_f64_e32 v[52:53], v[52:53], v[54:55]
	v_div_scale_f64 v[54:55], vcc_lo, v[44:45], v[40:41], v[44:45]
	v_mul_f64_e32 v[56:57], v[54:55], v[52:53]
	s_delay_alu instid0(VALU_DEP_1) | instskip(NEXT) | instid1(VALU_DEP_1)
	v_fma_f64 v[50:51], -v[50:51], v[56:57], v[54:55]
	v_div_fmas_f64 v[50:51], v[50:51], v[52:53], v[56:57]
	s_wait_loadcnt 0x0
	v_add_f64_e64 v[52:53], v[46:47], -v[48:49]
	s_delay_alu instid0(VALU_DEP_2) | instskip(SKIP_1) | instid1(VALU_DEP_2)
	v_div_fixup_f64 v[40:41], v[50:51], v[40:41], v[44:45]
	v_mov_b64_e32 v[44:45], 0
	v_add_f64_e32 v[40:41], v[52:53], v[40:41]
	s_wait_xcnt 0x0
	v_cmpx_gt_i32_e64 v2, v36
	s_cbranch_execz .LBB68_192
; %bb.166:                              ;   in Loop: Header=BB68_151 Depth=2
	v_ashrrev_i32_e32 v3, 31, v2
	v_mov_b64_e32 v[52:53], 0
	s_mov_b32 s37, exec_lo
	s_delay_alu instid0(VALU_DEP_2)
	v_lshl_add_u64 v[42:43], v[2:3], 3, s[46:47]
	global_load_b64 v[48:49], v[42:43], off offset:-8
	s_wait_xcnt 0x0
	v_mov_b64_e32 v[42:43], 1.0
	s_wait_loadcnt 0x0
	v_cmpx_neq_f64_e32 0, v[48:49]
	s_cbranch_execz .LBB68_174
; %bb.167:                              ;   in Loop: Header=BB68_151 Depth=2
	v_mov_b64_e32 v[42:43], 0
	v_mov_b64_e32 v[52:53], 1.0
	s_mov_b32 s39, exec_lo
	v_cmpx_neq_f64_e32 0, v[40:41]
	s_cbranch_execz .LBB68_173
; %bb.168:                              ;   in Loop: Header=BB68_151 Depth=2
	v_cmp_ngt_f64_e64 s76, |v[48:49]|, |v[40:41]|
                                        ; implicit-def: $vgpr52_vgpr53
                                        ; implicit-def: $vgpr42_vgpr43
	s_and_saveexec_b32 s78, s76
	s_delay_alu instid0(SALU_CYCLE_1)
	s_xor_b32 s76, exec_lo, s78
	s_cbranch_execz .LBB68_170
; %bb.169:                              ;   in Loop: Header=BB68_151 Depth=2
	v_div_scale_f64 v[42:43], null, v[40:41], v[40:41], -v[48:49]
	v_div_scale_f64 v[52:53], vcc_lo, -v[48:49], v[40:41], -v[48:49]
	s_delay_alu instid0(VALU_DEP_2) | instskip(SKIP_1) | instid1(TRANS32_DEP_1)
	v_rcp_f64_e32 v[44:45], v[42:43]
	v_nop
	v_fma_f64 v[50:51], -v[42:43], v[44:45], 1.0
	s_delay_alu instid0(VALU_DEP_1) | instskip(NEXT) | instid1(VALU_DEP_1)
	v_fmac_f64_e32 v[44:45], v[44:45], v[50:51]
	v_fma_f64 v[50:51], -v[42:43], v[44:45], 1.0
	s_delay_alu instid0(VALU_DEP_1) | instskip(NEXT) | instid1(VALU_DEP_1)
	v_fmac_f64_e32 v[44:45], v[44:45], v[50:51]
	v_mul_f64_e32 v[50:51], v[52:53], v[44:45]
	s_delay_alu instid0(VALU_DEP_1) | instskip(NEXT) | instid1(VALU_DEP_1)
	v_fma_f64 v[42:43], -v[42:43], v[50:51], v[52:53]
	v_div_fmas_f64 v[42:43], v[42:43], v[44:45], v[50:51]
	s_delay_alu instid0(VALU_DEP_1) | instskip(NEXT) | instid1(VALU_DEP_1)
	v_div_fixup_f64 v[40:41], v[42:43], v[40:41], -v[48:49]
	v_fma_f64 v[42:43], v[40:41], v[40:41], 1.0
	s_delay_alu instid0(VALU_DEP_1) | instskip(SKIP_1) | instid1(VALU_DEP_1)
	v_cmp_gt_f64_e32 vcc_lo, 0x10000000, v[42:43]
	v_cndmask_b32_e64 v37, 0, 0x100, vcc_lo
	v_ldexp_f64 v[42:43], v[42:43], v37
	v_cndmask_b32_e64 v37, 0, 0xffffff80, vcc_lo
	s_delay_alu instid0(VALU_DEP_2) | instskip(SKIP_1) | instid1(TRANS32_DEP_1)
	v_rsq_f64_e32 v[44:45], v[42:43]
	v_cmp_class_f64_e64 vcc_lo, v[42:43], 0x260
	v_mul_f64_e32 v[50:51], v[42:43], v[44:45]
	v_mul_f64_e32 v[44:45], 0.5, v[44:45]
	s_delay_alu instid0(VALU_DEP_1) | instskip(NEXT) | instid1(VALU_DEP_1)
	v_fma_f64 v[52:53], -v[44:45], v[50:51], 0.5
	v_fmac_f64_e32 v[50:51], v[50:51], v[52:53]
	v_fmac_f64_e32 v[44:45], v[44:45], v[52:53]
	s_delay_alu instid0(VALU_DEP_2) | instskip(NEXT) | instid1(VALU_DEP_1)
	v_fma_f64 v[52:53], -v[50:51], v[50:51], v[42:43]
	v_fmac_f64_e32 v[50:51], v[52:53], v[44:45]
	s_delay_alu instid0(VALU_DEP_1) | instskip(NEXT) | instid1(VALU_DEP_1)
	v_fma_f64 v[52:53], -v[50:51], v[50:51], v[42:43]
	v_fmac_f64_e32 v[50:51], v[52:53], v[44:45]
	s_delay_alu instid0(VALU_DEP_1) | instskip(NEXT) | instid1(VALU_DEP_1)
	v_ldexp_f64 v[44:45], v[50:51], v37
	v_dual_cndmask_b32 v43, v45, v43 :: v_dual_cndmask_b32 v42, v44, v42
	s_delay_alu instid0(VALU_DEP_1) | instskip(NEXT) | instid1(VALU_DEP_1)
	v_div_scale_f64 v[44:45], null, v[42:43], v[42:43], 1.0
	v_rcp_f64_e32 v[50:51], v[44:45]
	v_nop
	s_delay_alu instid0(TRANS32_DEP_1) | instskip(NEXT) | instid1(VALU_DEP_1)
	v_fma_f64 v[52:53], -v[44:45], v[50:51], 1.0
	v_fmac_f64_e32 v[50:51], v[50:51], v[52:53]
	s_delay_alu instid0(VALU_DEP_1) | instskip(NEXT) | instid1(VALU_DEP_1)
	v_fma_f64 v[52:53], -v[44:45], v[50:51], 1.0
	v_fmac_f64_e32 v[50:51], v[50:51], v[52:53]
	v_div_scale_f64 v[52:53], vcc_lo, 1.0, v[42:43], 1.0
	s_delay_alu instid0(VALU_DEP_1) | instskip(NEXT) | instid1(VALU_DEP_1)
	v_mul_f64_e32 v[54:55], v[52:53], v[50:51]
	v_fma_f64 v[44:45], -v[44:45], v[54:55], v[52:53]
	s_delay_alu instid0(VALU_DEP_1) | instskip(NEXT) | instid1(VALU_DEP_1)
	v_div_fmas_f64 v[44:45], v[44:45], v[50:51], v[54:55]
	v_div_fixup_f64 v[42:43], v[44:45], v[42:43], 1.0
	s_delay_alu instid0(VALU_DEP_1)
	v_mul_f64_e32 v[52:53], v[40:41], v[42:43]
                                        ; implicit-def: $vgpr40_vgpr41
.LBB68_170:                             ;   in Loop: Header=BB68_151 Depth=2
	s_and_not1_saveexec_b32 s76, s76
	s_cbranch_execz .LBB68_172
; %bb.171:                              ;   in Loop: Header=BB68_151 Depth=2
	v_div_scale_f64 v[42:43], null, v[48:49], v[48:49], -v[40:41]
	v_div_scale_f64 v[52:53], vcc_lo, -v[40:41], v[48:49], -v[40:41]
	s_delay_alu instid0(VALU_DEP_2) | instskip(SKIP_1) | instid1(TRANS32_DEP_1)
	v_rcp_f64_e32 v[44:45], v[42:43]
	v_nop
	v_fma_f64 v[50:51], -v[42:43], v[44:45], 1.0
	s_delay_alu instid0(VALU_DEP_1) | instskip(NEXT) | instid1(VALU_DEP_1)
	v_fmac_f64_e32 v[44:45], v[44:45], v[50:51]
	v_fma_f64 v[50:51], -v[42:43], v[44:45], 1.0
	s_delay_alu instid0(VALU_DEP_1) | instskip(NEXT) | instid1(VALU_DEP_1)
	v_fmac_f64_e32 v[44:45], v[44:45], v[50:51]
	v_mul_f64_e32 v[50:51], v[52:53], v[44:45]
	s_delay_alu instid0(VALU_DEP_1) | instskip(NEXT) | instid1(VALU_DEP_1)
	v_fma_f64 v[42:43], -v[42:43], v[50:51], v[52:53]
	v_div_fmas_f64 v[42:43], v[42:43], v[44:45], v[50:51]
	s_delay_alu instid0(VALU_DEP_1) | instskip(NEXT) | instid1(VALU_DEP_1)
	v_div_fixup_f64 v[40:41], v[42:43], v[48:49], -v[40:41]
	v_fma_f64 v[42:43], v[40:41], v[40:41], 1.0
	s_delay_alu instid0(VALU_DEP_1) | instskip(SKIP_1) | instid1(VALU_DEP_1)
	v_cmp_gt_f64_e32 vcc_lo, 0x10000000, v[42:43]
	v_cndmask_b32_e64 v37, 0, 0x100, vcc_lo
	v_ldexp_f64 v[42:43], v[42:43], v37
	v_cndmask_b32_e64 v37, 0, 0xffffff80, vcc_lo
	s_delay_alu instid0(VALU_DEP_2) | instskip(SKIP_1) | instid1(TRANS32_DEP_1)
	v_rsq_f64_e32 v[44:45], v[42:43]
	v_cmp_class_f64_e64 vcc_lo, v[42:43], 0x260
	v_mul_f64_e32 v[50:51], v[42:43], v[44:45]
	v_mul_f64_e32 v[44:45], 0.5, v[44:45]
	s_delay_alu instid0(VALU_DEP_1) | instskip(NEXT) | instid1(VALU_DEP_1)
	v_fma_f64 v[52:53], -v[44:45], v[50:51], 0.5
	v_fmac_f64_e32 v[50:51], v[50:51], v[52:53]
	v_fmac_f64_e32 v[44:45], v[44:45], v[52:53]
	s_delay_alu instid0(VALU_DEP_2) | instskip(NEXT) | instid1(VALU_DEP_1)
	v_fma_f64 v[52:53], -v[50:51], v[50:51], v[42:43]
	v_fmac_f64_e32 v[50:51], v[52:53], v[44:45]
	s_delay_alu instid0(VALU_DEP_1) | instskip(NEXT) | instid1(VALU_DEP_1)
	v_fma_f64 v[52:53], -v[50:51], v[50:51], v[42:43]
	v_fmac_f64_e32 v[50:51], v[52:53], v[44:45]
	s_delay_alu instid0(VALU_DEP_1) | instskip(NEXT) | instid1(VALU_DEP_1)
	v_ldexp_f64 v[44:45], v[50:51], v37
	v_dual_cndmask_b32 v43, v45, v43 :: v_dual_cndmask_b32 v42, v44, v42
	s_delay_alu instid0(VALU_DEP_1) | instskip(NEXT) | instid1(VALU_DEP_1)
	v_div_scale_f64 v[44:45], null, v[42:43], v[42:43], 1.0
	v_rcp_f64_e32 v[50:51], v[44:45]
	v_nop
	s_delay_alu instid0(TRANS32_DEP_1) | instskip(NEXT) | instid1(VALU_DEP_1)
	v_fma_f64 v[52:53], -v[44:45], v[50:51], 1.0
	v_fmac_f64_e32 v[50:51], v[50:51], v[52:53]
	s_delay_alu instid0(VALU_DEP_1) | instskip(NEXT) | instid1(VALU_DEP_1)
	v_fma_f64 v[52:53], -v[44:45], v[50:51], 1.0
	v_fmac_f64_e32 v[50:51], v[50:51], v[52:53]
	v_div_scale_f64 v[52:53], vcc_lo, 1.0, v[42:43], 1.0
	s_delay_alu instid0(VALU_DEP_1) | instskip(NEXT) | instid1(VALU_DEP_1)
	v_mul_f64_e32 v[54:55], v[52:53], v[50:51]
	v_fma_f64 v[44:45], -v[44:45], v[54:55], v[52:53]
	s_delay_alu instid0(VALU_DEP_1) | instskip(NEXT) | instid1(VALU_DEP_1)
	v_div_fmas_f64 v[44:45], v[44:45], v[50:51], v[54:55]
	v_div_fixup_f64 v[52:53], v[44:45], v[42:43], 1.0
	s_delay_alu instid0(VALU_DEP_1)
	v_mul_f64_e32 v[42:43], v[40:41], v[52:53]
.LBB68_172:                             ;   in Loop: Header=BB68_151 Depth=2
	s_or_b32 exec_lo, exec_lo, s76
.LBB68_173:                             ;   in Loop: Header=BB68_151 Depth=2
	s_delay_alu instid0(SALU_CYCLE_1)
	s_or_b32 exec_lo, exec_lo, s39
.LBB68_174:                             ;   in Loop: Header=BB68_151 Depth=2
	s_delay_alu instid0(SALU_CYCLE_1) | instskip(SKIP_1) | instid1(VALU_DEP_2)
	s_or_b32 exec_lo, exec_lo, s37
	v_lshl_add_u64 v[50:51], v[2:3], 3, s[18:19]
	v_add_f64_e32 v[44:45], v[42:43], v[42:43]
	s_mov_b32 s37, exec_lo
	global_load_b64 v[40:41], v[50:51], off offset:-8
	s_wait_loadcnt 0x0
	v_add_f64_e64 v[40:41], v[40:41], -v[46:47]
	s_delay_alu instid0(VALU_DEP_1) | instskip(NEXT) | instid1(VALU_DEP_1)
	v_mul_f64_e32 v[40:41], v[52:53], v[40:41]
	v_fma_f64 v[40:41], v[48:49], v[44:45], -v[40:41]
	s_delay_alu instid0(VALU_DEP_1) | instskip(SKIP_4) | instid1(VALU_DEP_2)
	v_mul_f64_e64 v[44:45], v[40:41], -v[52:53]
	v_fma_f64 v[54:55], v[40:41], -v[52:53], v[46:47]
	v_fma_f64 v[40:41], v[42:43], v[40:41], -v[48:49]
	v_lshl_add_u64 v[48:49], v[2:3], 3, s[50:51]
	v_add_nc_u32_e32 v46, -1, v2
	v_add_nc_u64_e32 v[56:57], -8, v[48:49]
	s_delay_alu instid0(VALU_DEP_1)
	v_lshl_add_u64 v[56:57], s[6:7], 3, v[56:57]
	ds_store_b64 v60, v[44:45]
	global_store_b64 v[50:51], v[54:55], off
	s_clause 0x1
	global_store_b64 v[48:49], v[42:43], off offset:-8
	global_store_b64 v[56:57], v[52:53], off offset:-8
	s_wait_xcnt 0x0
	v_cmpx_gt_i32_e64 v46, v36
	s_cbranch_execz .LBB68_191
; %bb.175:                              ;   in Loop: Header=BB68_151 Depth=2
	v_ashrrev_i32_e32 v47, 31, v46
	v_xor_b32_e32 v53, 0x80000000, v53
	s_mov_b32 s76, -1
	s_mov_b32 s39, 0
	s_mov_b64 s[78:79], s[62:63]
	v_lshlrev_b64_e32 v[46:47], 3, v[46:47]
	s_mov_b64 s[80:81], s[18:19]
	s_mov_b64 s[82:83], s[60:61]
	;; [unrolled: 1-line block ×3, first 2 shown]
	s_branch .LBB68_177
.LBB68_176:                             ;   in Loop: Header=BB68_177 Depth=3
	v_add_nc_u64_e32 v[58:59], s[80:81], v[46:47]
	s_add_co_i32 s76, s76, -1
	v_mul_f64_e32 v[42:43], v[42:43], v[48:49]
	v_add_f64_e32 v[48:49], v[56:57], v[56:57]
	v_add_nc_u64_e32 v[64:65], s[84:85], v[46:47]
	s_add_nc_u64 s[84:85], s[84:85], -8
	s_add_nc_u64 s[80:81], s[80:81], -8
	global_load_b128 v[50:53], v[58:59], off offset:-8
	s_add_nc_u64 s[78:79], s[78:79], -8
	v_add_nc_u32_e32 v3, s76, v2
	s_delay_alu instid0(VALU_DEP_1) | instskip(SKIP_4) | instid1(VALU_DEP_2)
	v_cmp_le_i32_e32 vcc_lo, v3, v36
	s_or_b32 s39, vcc_lo, s39
	s_wait_loadcnt 0x0
	v_dual_add_f64 v[40:41], v[52:53], -v[44:45] :: v_dual_mov_b32 v52, v54
	v_xor_b32_e32 v53, 0x80000000, v55
	v_add_f64_e64 v[44:45], v[50:51], -v[40:41]
	s_delay_alu instid0(VALU_DEP_1) | instskip(NEXT) | instid1(VALU_DEP_1)
	v_mul_f64_e32 v[44:45], v[54:55], v[44:45]
	v_fma_f64 v[48:49], v[42:43], v[48:49], -v[44:45]
	s_delay_alu instid0(VALU_DEP_1)
	v_fma_f64 v[50:51], v[48:49], -v[54:55], v[40:41]
	v_mul_f64_e64 v[44:45], v[48:49], -v[54:55]
	v_fma_f64 v[40:41], v[56:57], v[48:49], -v[42:43]
	v_mov_b64_e32 v[42:43], v[56:57]
	v_add_nc_u64_e32 v[48:49], s[82:83], v[46:47]
	s_add_nc_u64 s[82:83], s[82:83], -8
	global_store_b64 v[58:59], v[50:51], off
	global_store_b64 v[48:49], v[56:57], off
	;; [unrolled: 1-line block ×3, first 2 shown]
	s_wait_xcnt 0x0
	s_and_not1_b32 exec_lo, exec_lo, s39
	s_cbranch_execz .LBB68_190
.LBB68_177:                             ;   Parent Loop BB68_7 Depth=1
                                        ;     Parent Loop BB68_151 Depth=2
                                        ; =>    This Inner Loop Header: Depth=3
	s_delay_alu instid0(VALU_DEP_1)
	v_add_nc_u64_e32 v[50:51], s[78:79], v[46:47]
	v_mov_b64_e32 v[54:55], 0
	v_mov_b64_e32 v[56:57], 1.0
	s_mov_b32 s86, exec_lo
	global_load_b64 v[48:49], v[50:51], off
	s_wait_loadcnt 0x0
	v_mul_f64_e32 v[52:53], v[52:53], v[48:49]
	s_wait_xcnt 0x0
	s_delay_alu instid0(VALU_DEP_1)
	v_cmpx_neq_f64_e32 0, v[52:53]
	s_cbranch_execz .LBB68_187
; %bb.178:                              ;   in Loop: Header=BB68_177 Depth=3
	v_xor_b32_e32 v59, 0x80000000, v53
	v_mov_b32_e32 v58, v52
	s_mov_b32 s87, exec_lo
                                        ; implicit-def: $vgpr54_vgpr55
                                        ; implicit-def: $vgpr56_vgpr57
	v_cmpx_neq_f64_e32 0, v[40:41]
	s_xor_b32 s87, exec_lo, s87
	s_cbranch_execz .LBB68_184
; %bb.179:                              ;   in Loop: Header=BB68_177 Depth=3
	v_cmp_ngt_f64_e64 s88, |v[52:53]|, |v[40:41]|
                                        ; implicit-def: $vgpr54_vgpr55
                                        ; implicit-def: $vgpr56_vgpr57
	s_and_saveexec_b32 s89, s88
	s_delay_alu instid0(SALU_CYCLE_1)
	s_xor_b32 s88, exec_lo, s89
	s_cbranch_execz .LBB68_181
; %bb.180:                              ;   in Loop: Header=BB68_177 Depth=3
	v_div_scale_f64 v[54:55], null, v[40:41], v[40:41], -v[52:53]
	v_div_scale_f64 v[64:65], vcc_lo, -v[52:53], v[40:41], -v[52:53]
	s_delay_alu instid0(VALU_DEP_2) | instskip(SKIP_1) | instid1(TRANS32_DEP_1)
	v_rcp_f64_e32 v[56:57], v[54:55]
	v_nop
	v_fma_f64 v[58:59], -v[54:55], v[56:57], 1.0
	s_delay_alu instid0(VALU_DEP_1) | instskip(NEXT) | instid1(VALU_DEP_1)
	v_fmac_f64_e32 v[56:57], v[56:57], v[58:59]
	v_fma_f64 v[58:59], -v[54:55], v[56:57], 1.0
	s_delay_alu instid0(VALU_DEP_1) | instskip(NEXT) | instid1(VALU_DEP_1)
	v_fmac_f64_e32 v[56:57], v[56:57], v[58:59]
	v_mul_f64_e32 v[58:59], v[64:65], v[56:57]
	s_delay_alu instid0(VALU_DEP_1) | instskip(NEXT) | instid1(VALU_DEP_1)
	v_fma_f64 v[54:55], -v[54:55], v[58:59], v[64:65]
	v_div_fmas_f64 v[54:55], v[54:55], v[56:57], v[58:59]
	s_delay_alu instid0(VALU_DEP_1) | instskip(NEXT) | instid1(VALU_DEP_1)
	v_div_fixup_f64 v[54:55], v[54:55], v[40:41], -v[52:53]
	v_fma_f64 v[56:57], v[54:55], v[54:55], 1.0
	s_delay_alu instid0(VALU_DEP_1) | instskip(SKIP_1) | instid1(VALU_DEP_1)
	v_cmp_gt_f64_e32 vcc_lo, 0x10000000, v[56:57]
	v_cndmask_b32_e64 v3, 0, 0x100, vcc_lo
	v_ldexp_f64 v[56:57], v[56:57], v3
	v_cndmask_b32_e64 v3, 0, 0xffffff80, vcc_lo
	s_delay_alu instid0(VALU_DEP_2) | instskip(SKIP_1) | instid1(TRANS32_DEP_1)
	v_rsq_f64_e32 v[58:59], v[56:57]
	v_cmp_class_f64_e64 vcc_lo, v[56:57], 0x260
	v_mul_f64_e32 v[64:65], v[56:57], v[58:59]
	v_mul_f64_e32 v[58:59], 0.5, v[58:59]
	s_delay_alu instid0(VALU_DEP_1) | instskip(NEXT) | instid1(VALU_DEP_1)
	v_fma_f64 v[66:67], -v[58:59], v[64:65], 0.5
	v_fmac_f64_e32 v[64:65], v[64:65], v[66:67]
	v_fmac_f64_e32 v[58:59], v[58:59], v[66:67]
	s_delay_alu instid0(VALU_DEP_2) | instskip(NEXT) | instid1(VALU_DEP_1)
	v_fma_f64 v[66:67], -v[64:65], v[64:65], v[56:57]
	v_fmac_f64_e32 v[64:65], v[66:67], v[58:59]
	s_delay_alu instid0(VALU_DEP_1) | instskip(NEXT) | instid1(VALU_DEP_1)
	v_fma_f64 v[66:67], -v[64:65], v[64:65], v[56:57]
	v_fmac_f64_e32 v[64:65], v[66:67], v[58:59]
	s_delay_alu instid0(VALU_DEP_1) | instskip(NEXT) | instid1(VALU_DEP_1)
	v_ldexp_f64 v[58:59], v[64:65], v3
	v_dual_cndmask_b32 v57, v59, v57 :: v_dual_cndmask_b32 v56, v58, v56
	s_delay_alu instid0(VALU_DEP_1) | instskip(NEXT) | instid1(VALU_DEP_1)
	v_div_scale_f64 v[58:59], null, v[56:57], v[56:57], 1.0
	v_rcp_f64_e32 v[64:65], v[58:59]
	v_nop
	s_delay_alu instid0(TRANS32_DEP_1) | instskip(NEXT) | instid1(VALU_DEP_1)
	v_fma_f64 v[66:67], -v[58:59], v[64:65], 1.0
	v_fmac_f64_e32 v[64:65], v[64:65], v[66:67]
	s_delay_alu instid0(VALU_DEP_1) | instskip(NEXT) | instid1(VALU_DEP_1)
	v_fma_f64 v[66:67], -v[58:59], v[64:65], 1.0
	v_fmac_f64_e32 v[64:65], v[64:65], v[66:67]
	v_div_scale_f64 v[66:67], vcc_lo, 1.0, v[56:57], 1.0
	s_delay_alu instid0(VALU_DEP_1) | instskip(NEXT) | instid1(VALU_DEP_1)
	v_mul_f64_e32 v[68:69], v[66:67], v[64:65]
	v_fma_f64 v[58:59], -v[58:59], v[68:69], v[66:67]
	s_delay_alu instid0(VALU_DEP_1) | instskip(NEXT) | instid1(VALU_DEP_1)
	v_div_fmas_f64 v[58:59], v[58:59], v[64:65], v[68:69]
	v_div_fixup_f64 v[56:57], v[58:59], v[56:57], 1.0
	s_delay_alu instid0(VALU_DEP_1)
	v_mul_f64_e32 v[54:55], v[54:55], v[56:57]
.LBB68_181:                             ;   in Loop: Header=BB68_177 Depth=3
	s_and_not1_saveexec_b32 s88, s88
	s_cbranch_execz .LBB68_183
; %bb.182:                              ;   in Loop: Header=BB68_177 Depth=3
	v_div_scale_f64 v[54:55], null, v[52:53], v[52:53], -v[40:41]
	v_div_scale_f64 v[64:65], vcc_lo, -v[40:41], v[52:53], -v[40:41]
	s_delay_alu instid0(VALU_DEP_2) | instskip(SKIP_1) | instid1(TRANS32_DEP_1)
	v_rcp_f64_e32 v[56:57], v[54:55]
	v_nop
	v_fma_f64 v[58:59], -v[54:55], v[56:57], 1.0
	s_delay_alu instid0(VALU_DEP_1) | instskip(NEXT) | instid1(VALU_DEP_1)
	v_fmac_f64_e32 v[56:57], v[56:57], v[58:59]
	v_fma_f64 v[58:59], -v[54:55], v[56:57], 1.0
	s_delay_alu instid0(VALU_DEP_1) | instskip(NEXT) | instid1(VALU_DEP_1)
	v_fmac_f64_e32 v[56:57], v[56:57], v[58:59]
	v_mul_f64_e32 v[58:59], v[64:65], v[56:57]
	s_delay_alu instid0(VALU_DEP_1) | instskip(NEXT) | instid1(VALU_DEP_1)
	v_fma_f64 v[54:55], -v[54:55], v[58:59], v[64:65]
	v_div_fmas_f64 v[54:55], v[54:55], v[56:57], v[58:59]
	s_delay_alu instid0(VALU_DEP_1) | instskip(NEXT) | instid1(VALU_DEP_1)
	v_div_fixup_f64 v[56:57], v[54:55], v[52:53], -v[40:41]
	v_fma_f64 v[54:55], v[56:57], v[56:57], 1.0
	s_delay_alu instid0(VALU_DEP_1) | instskip(SKIP_1) | instid1(VALU_DEP_1)
	v_cmp_gt_f64_e32 vcc_lo, 0x10000000, v[54:55]
	v_cndmask_b32_e64 v3, 0, 0x100, vcc_lo
	v_ldexp_f64 v[54:55], v[54:55], v3
	v_cndmask_b32_e64 v3, 0, 0xffffff80, vcc_lo
	s_delay_alu instid0(VALU_DEP_2) | instskip(SKIP_1) | instid1(TRANS32_DEP_1)
	v_rsq_f64_e32 v[58:59], v[54:55]
	v_cmp_class_f64_e64 vcc_lo, v[54:55], 0x260
	v_mul_f64_e32 v[64:65], v[54:55], v[58:59]
	v_mul_f64_e32 v[58:59], 0.5, v[58:59]
	s_delay_alu instid0(VALU_DEP_1) | instskip(NEXT) | instid1(VALU_DEP_1)
	v_fma_f64 v[66:67], -v[58:59], v[64:65], 0.5
	v_fmac_f64_e32 v[64:65], v[64:65], v[66:67]
	v_fmac_f64_e32 v[58:59], v[58:59], v[66:67]
	s_delay_alu instid0(VALU_DEP_2) | instskip(NEXT) | instid1(VALU_DEP_1)
	v_fma_f64 v[66:67], -v[64:65], v[64:65], v[54:55]
	v_fmac_f64_e32 v[64:65], v[66:67], v[58:59]
	s_delay_alu instid0(VALU_DEP_1) | instskip(NEXT) | instid1(VALU_DEP_1)
	v_fma_f64 v[66:67], -v[64:65], v[64:65], v[54:55]
	v_fmac_f64_e32 v[64:65], v[66:67], v[58:59]
	s_delay_alu instid0(VALU_DEP_1) | instskip(NEXT) | instid1(VALU_DEP_1)
	v_ldexp_f64 v[58:59], v[64:65], v3
	v_dual_cndmask_b32 v55, v59, v55 :: v_dual_cndmask_b32 v54, v58, v54
	s_delay_alu instid0(VALU_DEP_1) | instskip(NEXT) | instid1(VALU_DEP_1)
	v_div_scale_f64 v[58:59], null, v[54:55], v[54:55], 1.0
	v_rcp_f64_e32 v[64:65], v[58:59]
	v_nop
	s_delay_alu instid0(TRANS32_DEP_1) | instskip(NEXT) | instid1(VALU_DEP_1)
	v_fma_f64 v[66:67], -v[58:59], v[64:65], 1.0
	v_fmac_f64_e32 v[64:65], v[64:65], v[66:67]
	s_delay_alu instid0(VALU_DEP_1) | instskip(NEXT) | instid1(VALU_DEP_1)
	v_fma_f64 v[66:67], -v[58:59], v[64:65], 1.0
	v_fmac_f64_e32 v[64:65], v[64:65], v[66:67]
	v_div_scale_f64 v[66:67], vcc_lo, 1.0, v[54:55], 1.0
	s_delay_alu instid0(VALU_DEP_1) | instskip(NEXT) | instid1(VALU_DEP_1)
	v_mul_f64_e32 v[68:69], v[66:67], v[64:65]
	v_fma_f64 v[58:59], -v[58:59], v[68:69], v[66:67]
	s_delay_alu instid0(VALU_DEP_1) | instskip(NEXT) | instid1(VALU_DEP_1)
	v_div_fmas_f64 v[58:59], v[58:59], v[64:65], v[68:69]
	v_div_fixup_f64 v[54:55], v[58:59], v[54:55], 1.0
	s_delay_alu instid0(VALU_DEP_1)
	v_mul_f64_e32 v[56:57], v[56:57], v[54:55]
.LBB68_183:                             ;   in Loop: Header=BB68_177 Depth=3
	s_or_b32 exec_lo, exec_lo, s88
	s_delay_alu instid0(VALU_DEP_1) | instskip(NEXT) | instid1(VALU_DEP_1)
	v_mul_f64_e32 v[52:53], v[52:53], v[54:55]
	v_fma_f64 v[58:59], v[40:41], v[56:57], -v[52:53]
.LBB68_184:                             ;   in Loop: Header=BB68_177 Depth=3
	s_and_not1_saveexec_b32 s87, s87
; %bb.185:                              ;   in Loop: Header=BB68_177 Depth=3
	v_mov_b64_e32 v[56:57], 0
	v_mov_b64_e32 v[54:55], 1.0
; %bb.186:                              ;   in Loop: Header=BB68_177 Depth=3
	s_or_b32 exec_lo, exec_lo, s87
	s_delay_alu instid0(VALU_DEP_3)
	v_mov_b64_e32 v[40:41], v[58:59]
.LBB68_187:                             ;   in Loop: Header=BB68_177 Depth=3
	s_or_b32 exec_lo, exec_lo, s86
	s_cmp_eq_u32 s76, 0
	s_cbranch_scc1 .LBB68_176
; %bb.188:                              ;   in Loop: Header=BB68_177 Depth=3
	global_store_b64 v[50:51], v[40:41], off offset:8
	s_branch .LBB68_176
.LBB68_189:                             ;   in Loop: Header=BB68_151 Depth=2
	ds_store_2addr_b32 v60, v2, v36 offset0:5 offset1:7
	s_cbranch_execz .LBB68_162
	s_branch .LBB68_163
.LBB68_190:                             ;   in Loop: Header=BB68_151 Depth=2
	s_or_b32 exec_lo, exec_lo, s39
	ds_store_b64 v60, v[44:45]
.LBB68_191:                             ;   in Loop: Header=BB68_151 Depth=2
	s_or_b32 exec_lo, exec_lo, s37
	global_load_b64 v[48:49], v[38:39], off
.LBB68_192:                             ;   in Loop: Header=BB68_151 Depth=2
	s_wait_xcnt 0x0
	s_or_b32 exec_lo, exec_lo, s33
	s_wait_loadcnt 0x0
	v_add_f64_e64 v[2:3], v[48:49], -v[44:45]
                                        ; implicit-def: $vgpr36
                                        ; implicit-def: $vgpr48_vgpr49
	global_store_b64 v[38:39], v[2:3], off
	global_store_b64 v[4:5], v[40:41], off
                                        ; implicit-def: $vgpr40_vgpr41
                                        ; implicit-def: $vgpr38_vgpr39
.LBB68_193:                             ;   in Loop: Header=BB68_151 Depth=2
	s_wait_xcnt 0x0
	s_and_not1_saveexec_b32 s33, s5
	s_cbranch_execz .LBB68_230
; %bb.194:                              ;   in Loop: Header=BB68_151 Depth=2
	v_lshl_add_u64 v[42:43], v[40:41], 3, s[46:47]
                                        ; implicit-def: $vgpr52_vgpr53
	global_load_b64 v[2:3], v[38:39], off offset:8
	global_load_b64 v[50:51], v[42:43], off
	s_wait_loadcnt 0x1
	v_add_f64_e64 v[46:47], v[48:49], -v[2:3]
	s_wait_loadcnt 0x0
	v_add_f64_e32 v[44:45], v[50:51], v[50:51]
	s_delay_alu instid0(VALU_DEP_1) | instskip(SKIP_2) | instid1(SALU_CYCLE_1)
	v_cmp_ngt_f64_e64 s5, |v[46:47]|, |v[44:45]|
	s_wait_xcnt 0x0
	s_and_saveexec_b32 s37, s5
	s_xor_b32 s5, exec_lo, s37
	s_cbranch_execz .LBB68_200
; %bb.195:                              ;   in Loop: Header=BB68_151 Depth=2
	v_cmp_nlt_f64_e64 s37, |v[46:47]|, |v[44:45]|
                                        ; implicit-def: $vgpr52_vgpr53
	s_and_saveexec_b32 s39, s37
	s_delay_alu instid0(SALU_CYCLE_1)
	s_xor_b32 s37, exec_lo, s39
; %bb.196:                              ;   in Loop: Header=BB68_151 Depth=2
	v_mul_f64_e64 v[52:53], |v[44:45]|, s[66:67]
; %bb.197:                              ;   in Loop: Header=BB68_151 Depth=2
	s_and_not1_saveexec_b32 s37, s37
	s_cbranch_execz .LBB68_199
; %bb.198:                              ;   in Loop: Header=BB68_151 Depth=2
	v_and_b32_e32 v5, 0x7fffffff, v47
	v_dual_mov_b32 v4, v46 :: v_dual_mov_b32 v52, v44
	v_and_b32_e32 v53, 0x7fffffff, v45
	s_delay_alu instid0(VALU_DEP_1) | instskip(SKIP_1) | instid1(VALU_DEP_2)
	v_div_scale_f64 v[54:55], null, v[52:53], v[52:53], v[4:5]
	v_div_scale_f64 v[4:5], vcc_lo, v[4:5], v[52:53], v[4:5]
	v_rcp_f64_e32 v[56:57], v[54:55]
	v_nop
	s_delay_alu instid0(TRANS32_DEP_1) | instskip(NEXT) | instid1(VALU_DEP_1)
	v_fma_f64 v[58:59], -v[54:55], v[56:57], 1.0
	v_fmac_f64_e32 v[56:57], v[56:57], v[58:59]
	s_delay_alu instid0(VALU_DEP_1) | instskip(NEXT) | instid1(VALU_DEP_1)
	v_fma_f64 v[58:59], -v[54:55], v[56:57], 1.0
	v_fmac_f64_e32 v[56:57], v[56:57], v[58:59]
	s_delay_alu instid0(VALU_DEP_1) | instskip(NEXT) | instid1(VALU_DEP_1)
	v_mul_f64_e32 v[52:53], v[4:5], v[56:57]
	v_fma_f64 v[4:5], -v[54:55], v[52:53], v[4:5]
	s_delay_alu instid0(VALU_DEP_1) | instskip(NEXT) | instid1(VALU_DEP_1)
	v_div_fmas_f64 v[4:5], v[4:5], v[56:57], v[52:53]
	v_div_fixup_f64 v[4:5], v[4:5], |v[44:45]|, |v[46:47]|
	s_delay_alu instid0(VALU_DEP_1) | instskip(NEXT) | instid1(VALU_DEP_1)
	v_fma_f64 v[4:5], v[4:5], v[4:5], 1.0
	v_cmp_gt_f64_e32 vcc_lo, 0x10000000, v[4:5]
	v_cndmask_b32_e64 v37, 0, 0x100, vcc_lo
	s_delay_alu instid0(VALU_DEP_1) | instskip(SKIP_1) | instid1(VALU_DEP_2)
	v_ldexp_f64 v[4:5], v[4:5], v37
	v_cndmask_b32_e64 v37, 0, 0xffffff80, vcc_lo
	v_rsq_f64_e32 v[52:53], v[4:5]
	v_cmp_class_f64_e64 vcc_lo, v[4:5], 0x260
	s_delay_alu instid0(TRANS32_DEP_1) | instskip(SKIP_1) | instid1(VALU_DEP_1)
	v_mul_f64_e32 v[54:55], v[4:5], v[52:53]
	v_mul_f64_e32 v[52:53], 0.5, v[52:53]
	v_fma_f64 v[56:57], -v[52:53], v[54:55], 0.5
	s_delay_alu instid0(VALU_DEP_1) | instskip(SKIP_1) | instid1(VALU_DEP_2)
	v_fmac_f64_e32 v[54:55], v[54:55], v[56:57]
	v_fmac_f64_e32 v[52:53], v[52:53], v[56:57]
	v_fma_f64 v[58:59], -v[54:55], v[54:55], v[4:5]
	s_delay_alu instid0(VALU_DEP_1) | instskip(NEXT) | instid1(VALU_DEP_1)
	v_fmac_f64_e32 v[54:55], v[58:59], v[52:53]
	v_fma_f64 v[56:57], -v[54:55], v[54:55], v[4:5]
	s_delay_alu instid0(VALU_DEP_1) | instskip(NEXT) | instid1(VALU_DEP_1)
	v_fmac_f64_e32 v[54:55], v[56:57], v[52:53]
	v_ldexp_f64 v[52:53], v[54:55], v37
	s_delay_alu instid0(VALU_DEP_1) | instskip(NEXT) | instid1(VALU_DEP_1)
	v_dual_cndmask_b32 v5, v53, v5 :: v_dual_cndmask_b32 v4, v52, v4
	v_mul_f64_e64 v[52:53], |v[44:45]|, v[4:5]
.LBB68_199:                             ;   in Loop: Header=BB68_151 Depth=2
	s_or_b32 exec_lo, exec_lo, s37
.LBB68_200:                             ;   in Loop: Header=BB68_151 Depth=2
	s_and_not1_saveexec_b32 s5, s5
	s_cbranch_execz .LBB68_202
; %bb.201:                              ;   in Loop: Header=BB68_151 Depth=2
	v_and_b32_e32 v5, 0x7fffffff, v45
	v_dual_mov_b32 v4, v44 :: v_dual_mov_b32 v52, v46
	v_and_b32_e32 v53, 0x7fffffff, v47
	s_delay_alu instid0(VALU_DEP_1) | instskip(SKIP_1) | instid1(VALU_DEP_2)
	v_div_scale_f64 v[54:55], null, v[52:53], v[52:53], v[4:5]
	v_div_scale_f64 v[4:5], vcc_lo, v[4:5], v[52:53], v[4:5]
	v_rcp_f64_e32 v[56:57], v[54:55]
	v_nop
	s_delay_alu instid0(TRANS32_DEP_1) | instskip(NEXT) | instid1(VALU_DEP_1)
	v_fma_f64 v[58:59], -v[54:55], v[56:57], 1.0
	v_fmac_f64_e32 v[56:57], v[56:57], v[58:59]
	s_delay_alu instid0(VALU_DEP_1) | instskip(NEXT) | instid1(VALU_DEP_1)
	v_fma_f64 v[58:59], -v[54:55], v[56:57], 1.0
	v_fmac_f64_e32 v[56:57], v[56:57], v[58:59]
	s_delay_alu instid0(VALU_DEP_1) | instskip(NEXT) | instid1(VALU_DEP_1)
	v_mul_f64_e32 v[52:53], v[4:5], v[56:57]
	v_fma_f64 v[4:5], -v[54:55], v[52:53], v[4:5]
	s_delay_alu instid0(VALU_DEP_1) | instskip(NEXT) | instid1(VALU_DEP_1)
	v_div_fmas_f64 v[4:5], v[4:5], v[56:57], v[52:53]
	v_div_fixup_f64 v[4:5], v[4:5], |v[46:47]|, |v[44:45]|
	s_delay_alu instid0(VALU_DEP_1) | instskip(NEXT) | instid1(VALU_DEP_1)
	v_fma_f64 v[4:5], v[4:5], v[4:5], 1.0
	v_cmp_gt_f64_e32 vcc_lo, 0x10000000, v[4:5]
	v_cndmask_b32_e64 v37, 0, 0x100, vcc_lo
	s_delay_alu instid0(VALU_DEP_1) | instskip(SKIP_1) | instid1(VALU_DEP_2)
	v_ldexp_f64 v[4:5], v[4:5], v37
	v_cndmask_b32_e64 v37, 0, 0xffffff80, vcc_lo
	v_rsq_f64_e32 v[52:53], v[4:5]
	v_cmp_class_f64_e64 vcc_lo, v[4:5], 0x260
	s_delay_alu instid0(TRANS32_DEP_1) | instskip(SKIP_1) | instid1(VALU_DEP_1)
	v_mul_f64_e32 v[54:55], v[4:5], v[52:53]
	v_mul_f64_e32 v[52:53], 0.5, v[52:53]
	v_fma_f64 v[56:57], -v[52:53], v[54:55], 0.5
	s_delay_alu instid0(VALU_DEP_1) | instskip(SKIP_1) | instid1(VALU_DEP_2)
	v_fmac_f64_e32 v[54:55], v[54:55], v[56:57]
	v_fmac_f64_e32 v[52:53], v[52:53], v[56:57]
	v_fma_f64 v[58:59], -v[54:55], v[54:55], v[4:5]
	s_delay_alu instid0(VALU_DEP_1) | instskip(NEXT) | instid1(VALU_DEP_1)
	v_fmac_f64_e32 v[54:55], v[58:59], v[52:53]
	v_fma_f64 v[56:57], -v[54:55], v[54:55], v[4:5]
	s_delay_alu instid0(VALU_DEP_1) | instskip(NEXT) | instid1(VALU_DEP_1)
	v_fmac_f64_e32 v[54:55], v[56:57], v[52:53]
	v_ldexp_f64 v[52:53], v[54:55], v37
	s_delay_alu instid0(VALU_DEP_1) | instskip(NEXT) | instid1(VALU_DEP_1)
	v_dual_cndmask_b32 v5, v53, v5 :: v_dual_cndmask_b32 v4, v52, v4
	v_mul_f64_e64 v[52:53], |v[46:47]|, v[4:5]
.LBB68_202:                             ;   in Loop: Header=BB68_151 Depth=2
	s_or_b32 exec_lo, exec_lo, s5
	v_cmp_gt_f64_e64 vcc_lo, |v[48:49]|, |v[2:3]|
	v_add_f64_e32 v[56:57], v[48:49], v[2:3]
	s_mov_b32 s37, exec_lo
	v_dual_cndmask_b32 v55, v49, v3 :: v_dual_cndmask_b32 v54, v48, v2
	v_dual_cndmask_b32 v49, v3, v49 :: v_dual_cndmask_b32 v48, v2, v48
                                        ; implicit-def: $vgpr4_vgpr5
	s_delay_alu instid0(VALU_DEP_3)
	v_cmpx_ngt_f64_e32 0, v[56:57]
	s_xor_b32 s37, exec_lo, s37
	s_cbranch_execz .LBB68_208
; %bb.203:                              ;   in Loop: Header=BB68_151 Depth=2
	s_mov_b32 s5, exec_lo
                                        ; implicit-def: $vgpr4_vgpr5
	v_cmpx_nlt_f64_e32 0, v[56:57]
	s_xor_b32 s5, exec_lo, s5
	s_cbranch_execz .LBB68_205
; %bb.204:                              ;   in Loop: Header=BB68_151 Depth=2
	v_mul_f64_e32 v[2:3], 0.5, v[52:53]
	v_mul_f64_e32 v[4:5], -0.5, v[52:53]
                                        ; implicit-def: $vgpr56_vgpr57
                                        ; implicit-def: $vgpr48_vgpr49
                                        ; implicit-def: $vgpr50_vgpr51
                                        ; implicit-def: $vgpr54_vgpr55
.LBB68_205:                             ;   in Loop: Header=BB68_151 Depth=2
	s_and_not1_saveexec_b32 s39, s5
	s_cbranch_execz .LBB68_207
; %bb.206:                              ;   in Loop: Header=BB68_151 Depth=2
	v_add_f64_e32 v[2:3], v[56:57], v[52:53]
	s_delay_alu instid0(VALU_DEP_1) | instskip(NEXT) | instid1(VALU_DEP_1)
	v_mul_f64_e32 v[2:3], 0.5, v[2:3]
	v_div_scale_f64 v[4:5], null, v[2:3], v[2:3], v[48:49]
	v_div_scale_f64 v[56:57], null, v[2:3], v[2:3], v[50:51]
	v_div_scale_f64 v[70:71], vcc_lo, v[48:49], v[2:3], v[48:49]
	s_delay_alu instid0(VALU_DEP_3) | instskip(NEXT) | instid1(VALU_DEP_2)
	v_rcp_f64_e32 v[58:59], v[4:5]
	v_rcp_f64_e32 v[64:65], v[56:57]
	s_delay_alu instid0(TRANS32_DEP_2) | instskip(NEXT) | instid1(TRANS32_DEP_1)
	v_fma_f64 v[66:67], -v[4:5], v[58:59], 1.0
	v_fma_f64 v[68:69], -v[56:57], v[64:65], 1.0
	s_delay_alu instid0(VALU_DEP_2) | instskip(NEXT) | instid1(VALU_DEP_2)
	v_fmac_f64_e32 v[58:59], v[58:59], v[66:67]
	v_fmac_f64_e32 v[64:65], v[64:65], v[68:69]
	s_delay_alu instid0(VALU_DEP_2) | instskip(NEXT) | instid1(VALU_DEP_2)
	v_fma_f64 v[66:67], -v[4:5], v[58:59], 1.0
	v_fma_f64 v[68:69], -v[56:57], v[64:65], 1.0
	s_delay_alu instid0(VALU_DEP_2) | instskip(SKIP_1) | instid1(VALU_DEP_3)
	v_fmac_f64_e32 v[58:59], v[58:59], v[66:67]
	v_div_scale_f64 v[66:67], s5, v[50:51], v[2:3], v[50:51]
	v_fmac_f64_e32 v[64:65], v[64:65], v[68:69]
	s_delay_alu instid0(VALU_DEP_3) | instskip(NEXT) | instid1(VALU_DEP_2)
	v_mul_f64_e32 v[68:69], v[70:71], v[58:59]
	v_mul_f64_e32 v[72:73], v[66:67], v[64:65]
	s_delay_alu instid0(VALU_DEP_2) | instskip(NEXT) | instid1(VALU_DEP_2)
	v_fma_f64 v[4:5], -v[4:5], v[68:69], v[70:71]
	v_fma_f64 v[56:57], -v[56:57], v[72:73], v[66:67]
	s_delay_alu instid0(VALU_DEP_2) | instskip(SKIP_1) | instid1(VALU_DEP_2)
	v_div_fmas_f64 v[4:5], v[4:5], v[58:59], v[68:69]
	s_mov_b32 vcc_lo, s5
	v_div_fmas_f64 v[56:57], v[56:57], v[64:65], v[72:73]
	s_delay_alu instid0(VALU_DEP_2) | instskip(NEXT) | instid1(VALU_DEP_2)
	v_div_fixup_f64 v[4:5], v[4:5], v[2:3], v[48:49]
	v_div_fixup_f64 v[56:57], v[56:57], v[2:3], v[50:51]
	s_delay_alu instid0(VALU_DEP_1) | instskip(NEXT) | instid1(VALU_DEP_1)
	v_mul_f64_e32 v[48:49], v[50:51], v[56:57]
	v_fma_f64 v[4:5], v[54:55], v[4:5], -v[48:49]
.LBB68_207:                             ;   in Loop: Header=BB68_151 Depth=2
	s_or_b32 exec_lo, exec_lo, s39
                                        ; implicit-def: $vgpr56_vgpr57
                                        ; implicit-def: $vgpr48_vgpr49
                                        ; implicit-def: $vgpr50_vgpr51
                                        ; implicit-def: $vgpr54_vgpr55
.LBB68_208:                             ;   in Loop: Header=BB68_151 Depth=2
	s_or_saveexec_b32 s37, s37
	v_mov_b32_e32 v37, 1
	s_xor_b32 exec_lo, exec_lo, s37
	s_cbranch_execz .LBB68_210
; %bb.209:                              ;   in Loop: Header=BB68_151 Depth=2
	v_dual_add_f64 v[2:3], v[56:57], -v[52:53] :: v_dual_mov_b32 v37, -1
	s_delay_alu instid0(VALU_DEP_1) | instskip(NEXT) | instid1(VALU_DEP_1)
	v_mul_f64_e32 v[2:3], 0.5, v[2:3]
	v_div_scale_f64 v[4:5], null, v[2:3], v[2:3], v[48:49]
	v_div_scale_f64 v[56:57], null, v[2:3], v[2:3], v[50:51]
	v_div_scale_f64 v[70:71], vcc_lo, v[48:49], v[2:3], v[48:49]
	s_delay_alu instid0(VALU_DEP_3) | instskip(NEXT) | instid1(VALU_DEP_2)
	v_rcp_f64_e32 v[58:59], v[4:5]
	v_rcp_f64_e32 v[64:65], v[56:57]
	s_delay_alu instid0(TRANS32_DEP_2) | instskip(NEXT) | instid1(TRANS32_DEP_1)
	v_fma_f64 v[66:67], -v[4:5], v[58:59], 1.0
	v_fma_f64 v[68:69], -v[56:57], v[64:65], 1.0
	s_delay_alu instid0(VALU_DEP_2) | instskip(NEXT) | instid1(VALU_DEP_2)
	v_fmac_f64_e32 v[58:59], v[58:59], v[66:67]
	v_fmac_f64_e32 v[64:65], v[64:65], v[68:69]
	s_delay_alu instid0(VALU_DEP_2) | instskip(NEXT) | instid1(VALU_DEP_2)
	v_fma_f64 v[66:67], -v[4:5], v[58:59], 1.0
	v_fma_f64 v[68:69], -v[56:57], v[64:65], 1.0
	s_delay_alu instid0(VALU_DEP_2) | instskip(SKIP_1) | instid1(VALU_DEP_3)
	v_fmac_f64_e32 v[58:59], v[58:59], v[66:67]
	v_div_scale_f64 v[66:67], s5, v[50:51], v[2:3], v[50:51]
	v_fmac_f64_e32 v[64:65], v[64:65], v[68:69]
	s_delay_alu instid0(VALU_DEP_3) | instskip(NEXT) | instid1(VALU_DEP_2)
	v_mul_f64_e32 v[68:69], v[70:71], v[58:59]
	v_mul_f64_e32 v[72:73], v[66:67], v[64:65]
	s_delay_alu instid0(VALU_DEP_2) | instskip(NEXT) | instid1(VALU_DEP_2)
	v_fma_f64 v[4:5], -v[4:5], v[68:69], v[70:71]
	v_fma_f64 v[56:57], -v[56:57], v[72:73], v[66:67]
	s_delay_alu instid0(VALU_DEP_2) | instskip(SKIP_1) | instid1(VALU_DEP_2)
	v_div_fmas_f64 v[4:5], v[4:5], v[58:59], v[68:69]
	s_mov_b32 vcc_lo, s5
	v_div_fmas_f64 v[56:57], v[56:57], v[64:65], v[72:73]
	s_delay_alu instid0(VALU_DEP_2) | instskip(NEXT) | instid1(VALU_DEP_2)
	v_div_fixup_f64 v[4:5], v[4:5], v[2:3], v[48:49]
	v_div_fixup_f64 v[56:57], v[56:57], v[2:3], v[50:51]
	s_delay_alu instid0(VALU_DEP_1) | instskip(NEXT) | instid1(VALU_DEP_1)
	v_mul_f64_e32 v[48:49], v[50:51], v[56:57]
	v_fma_f64 v[4:5], v[54:55], v[4:5], -v[48:49]
.LBB68_210:                             ;   in Loop: Header=BB68_151 Depth=2
	s_or_b32 exec_lo, exec_lo, s37
	s_delay_alu instid0(SALU_CYCLE_1)
	s_mov_b32 s5, exec_lo
                                        ; implicit-def: $vgpr48_vgpr49
	v_cmpx_le_f64_e32 0, v[46:47]
	s_xor_b32 s5, exec_lo, s5
; %bb.211:                              ;   in Loop: Header=BB68_151 Depth=2
	v_add_f64_e32 v[48:49], v[46:47], v[52:53]
                                        ; implicit-def: $vgpr52_vgpr53
                                        ; implicit-def: $vgpr46_vgpr47
; %bb.212:                              ;   in Loop: Header=BB68_151 Depth=2
	s_or_saveexec_b32 s5, s5
	v_mov_b32_e32 v54, 1
	s_xor_b32 exec_lo, exec_lo, s5
; %bb.213:                              ;   in Loop: Header=BB68_151 Depth=2
	v_dual_add_f64 v[48:49], v[46:47], -v[52:53] :: v_dual_mov_b32 v54, -1
; %bb.214:                              ;   in Loop: Header=BB68_151 Depth=2
	s_or_b32 exec_lo, exec_lo, s5
	s_delay_alu instid0(VALU_DEP_1) | instskip(SKIP_1) | instid1(SALU_CYCLE_1)
	v_cmp_ngt_f64_e64 s5, |v[48:49]|, |v[44:45]|
                                        ; implicit-def: $vgpr50_vgpr51
                                        ; implicit-def: $vgpr46_vgpr47
	s_and_saveexec_b32 s37, s5
	s_xor_b32 s5, exec_lo, s37
	s_cbranch_execz .LBB68_218
; %bb.215:                              ;   in Loop: Header=BB68_151 Depth=2
	v_mov_b64_e32 v[46:47], 0
	v_mov_b64_e32 v[50:51], 1.0
	s_mov_b32 s37, exec_lo
	v_cmpx_neq_f64_e32 0, v[44:45]
	s_cbranch_execz .LBB68_217
; %bb.216:                              ;   in Loop: Header=BB68_151 Depth=2
	v_div_scale_f64 v[46:47], null, v[44:45], v[44:45], -v[48:49]
	v_div_scale_f64 v[56:57], vcc_lo, -v[48:49], v[44:45], -v[48:49]
	s_delay_alu instid0(VALU_DEP_2) | instskip(SKIP_1) | instid1(TRANS32_DEP_1)
	v_rcp_f64_e32 v[50:51], v[46:47]
	v_nop
	v_fma_f64 v[52:53], -v[46:47], v[50:51], 1.0
	s_delay_alu instid0(VALU_DEP_1) | instskip(NEXT) | instid1(VALU_DEP_1)
	v_fmac_f64_e32 v[50:51], v[50:51], v[52:53]
	v_fma_f64 v[52:53], -v[46:47], v[50:51], 1.0
	s_delay_alu instid0(VALU_DEP_1) | instskip(NEXT) | instid1(VALU_DEP_1)
	v_fmac_f64_e32 v[50:51], v[50:51], v[52:53]
	v_mul_f64_e32 v[52:53], v[56:57], v[50:51]
	s_delay_alu instid0(VALU_DEP_1) | instskip(NEXT) | instid1(VALU_DEP_1)
	v_fma_f64 v[46:47], -v[46:47], v[52:53], v[56:57]
	v_div_fmas_f64 v[46:47], v[46:47], v[50:51], v[52:53]
	s_delay_alu instid0(VALU_DEP_1) | instskip(NEXT) | instid1(VALU_DEP_1)
	v_div_fixup_f64 v[44:45], v[46:47], v[44:45], -v[48:49]
	v_fma_f64 v[46:47], v[44:45], v[44:45], 1.0
	s_delay_alu instid0(VALU_DEP_1) | instskip(SKIP_1) | instid1(VALU_DEP_1)
	v_cmp_gt_f64_e32 vcc_lo, 0x10000000, v[46:47]
	v_cndmask_b32_e64 v48, 0, 0x100, vcc_lo
	v_ldexp_f64 v[46:47], v[46:47], v48
	s_delay_alu instid0(VALU_DEP_1) | instskip(SKIP_1) | instid1(TRANS32_DEP_1)
	v_rsq_f64_e32 v[48:49], v[46:47]
	v_nop
	v_mul_f64_e32 v[50:51], v[46:47], v[48:49]
	v_mul_f64_e32 v[48:49], 0.5, v[48:49]
	s_delay_alu instid0(VALU_DEP_1) | instskip(NEXT) | instid1(VALU_DEP_1)
	v_fma_f64 v[52:53], -v[48:49], v[50:51], 0.5
	v_fmac_f64_e32 v[50:51], v[50:51], v[52:53]
	v_fmac_f64_e32 v[48:49], v[48:49], v[52:53]
	s_delay_alu instid0(VALU_DEP_2) | instskip(NEXT) | instid1(VALU_DEP_1)
	v_fma_f64 v[52:53], -v[50:51], v[50:51], v[46:47]
	v_fmac_f64_e32 v[50:51], v[52:53], v[48:49]
	s_delay_alu instid0(VALU_DEP_1) | instskip(NEXT) | instid1(VALU_DEP_1)
	v_fma_f64 v[52:53], -v[50:51], v[50:51], v[46:47]
	v_fmac_f64_e32 v[50:51], v[52:53], v[48:49]
	v_cndmask_b32_e64 v48, 0, 0xffffff80, vcc_lo
	v_cmp_class_f64_e64 vcc_lo, v[46:47], 0x260
	s_delay_alu instid0(VALU_DEP_2) | instskip(NEXT) | instid1(VALU_DEP_1)
	v_ldexp_f64 v[48:49], v[50:51], v48
	v_dual_cndmask_b32 v47, v49, v47 :: v_dual_cndmask_b32 v46, v48, v46
	s_delay_alu instid0(VALU_DEP_1) | instskip(NEXT) | instid1(VALU_DEP_1)
	v_div_scale_f64 v[48:49], null, v[46:47], v[46:47], 1.0
	v_rcp_f64_e32 v[50:51], v[48:49]
	v_nop
	s_delay_alu instid0(TRANS32_DEP_1) | instskip(NEXT) | instid1(VALU_DEP_1)
	v_fma_f64 v[52:53], -v[48:49], v[50:51], 1.0
	v_fmac_f64_e32 v[50:51], v[50:51], v[52:53]
	s_delay_alu instid0(VALU_DEP_1) | instskip(NEXT) | instid1(VALU_DEP_1)
	v_fma_f64 v[52:53], -v[48:49], v[50:51], 1.0
	v_fmac_f64_e32 v[50:51], v[50:51], v[52:53]
	v_div_scale_f64 v[52:53], vcc_lo, 1.0, v[46:47], 1.0
	s_delay_alu instid0(VALU_DEP_1) | instskip(NEXT) | instid1(VALU_DEP_1)
	v_mul_f64_e32 v[56:57], v[52:53], v[50:51]
	v_fma_f64 v[48:49], -v[48:49], v[56:57], v[52:53]
	s_delay_alu instid0(VALU_DEP_1) | instskip(NEXT) | instid1(VALU_DEP_1)
	v_div_fmas_f64 v[48:49], v[48:49], v[50:51], v[56:57]
	v_div_fixup_f64 v[50:51], v[48:49], v[46:47], 1.0
	s_delay_alu instid0(VALU_DEP_1)
	v_mul_f64_e32 v[46:47], v[44:45], v[50:51]
.LBB68_217:                             ;   in Loop: Header=BB68_151 Depth=2
	s_or_b32 exec_lo, exec_lo, s37
                                        ; implicit-def: $vgpr48_vgpr49
                                        ; implicit-def: $vgpr44_vgpr45
.LBB68_218:                             ;   in Loop: Header=BB68_151 Depth=2
	s_and_not1_saveexec_b32 s5, s5
	s_cbranch_execz .LBB68_220
; %bb.219:                              ;   in Loop: Header=BB68_151 Depth=2
	v_div_scale_f64 v[46:47], null, v[48:49], v[48:49], -v[44:45]
	v_div_scale_f64 v[56:57], vcc_lo, -v[44:45], v[48:49], -v[44:45]
	s_delay_alu instid0(VALU_DEP_2) | instskip(SKIP_1) | instid1(TRANS32_DEP_1)
	v_rcp_f64_e32 v[50:51], v[46:47]
	v_nop
	v_fma_f64 v[52:53], -v[46:47], v[50:51], 1.0
	s_delay_alu instid0(VALU_DEP_1) | instskip(NEXT) | instid1(VALU_DEP_1)
	v_fmac_f64_e32 v[50:51], v[50:51], v[52:53]
	v_fma_f64 v[52:53], -v[46:47], v[50:51], 1.0
	s_delay_alu instid0(VALU_DEP_1) | instskip(NEXT) | instid1(VALU_DEP_1)
	v_fmac_f64_e32 v[50:51], v[50:51], v[52:53]
	v_mul_f64_e32 v[52:53], v[56:57], v[50:51]
	s_delay_alu instid0(VALU_DEP_1) | instskip(NEXT) | instid1(VALU_DEP_1)
	v_fma_f64 v[46:47], -v[46:47], v[52:53], v[56:57]
	v_div_fmas_f64 v[46:47], v[46:47], v[50:51], v[52:53]
	s_delay_alu instid0(VALU_DEP_1) | instskip(NEXT) | instid1(VALU_DEP_1)
	v_div_fixup_f64 v[44:45], v[46:47], v[48:49], -v[44:45]
	v_fma_f64 v[46:47], v[44:45], v[44:45], 1.0
	s_delay_alu instid0(VALU_DEP_1) | instskip(SKIP_1) | instid1(VALU_DEP_1)
	v_cmp_gt_f64_e32 vcc_lo, 0x10000000, v[46:47]
	v_cndmask_b32_e64 v48, 0, 0x100, vcc_lo
	v_ldexp_f64 v[46:47], v[46:47], v48
	s_delay_alu instid0(VALU_DEP_1) | instskip(SKIP_1) | instid1(TRANS32_DEP_1)
	v_rsq_f64_e32 v[48:49], v[46:47]
	v_nop
	v_mul_f64_e32 v[50:51], v[46:47], v[48:49]
	v_mul_f64_e32 v[48:49], 0.5, v[48:49]
	s_delay_alu instid0(VALU_DEP_1) | instskip(NEXT) | instid1(VALU_DEP_1)
	v_fma_f64 v[52:53], -v[48:49], v[50:51], 0.5
	v_fmac_f64_e32 v[50:51], v[50:51], v[52:53]
	v_fmac_f64_e32 v[48:49], v[48:49], v[52:53]
	s_delay_alu instid0(VALU_DEP_2) | instskip(NEXT) | instid1(VALU_DEP_1)
	v_fma_f64 v[52:53], -v[50:51], v[50:51], v[46:47]
	v_fmac_f64_e32 v[50:51], v[52:53], v[48:49]
	s_delay_alu instid0(VALU_DEP_1) | instskip(NEXT) | instid1(VALU_DEP_1)
	v_fma_f64 v[52:53], -v[50:51], v[50:51], v[46:47]
	v_fmac_f64_e32 v[50:51], v[52:53], v[48:49]
	v_cndmask_b32_e64 v48, 0, 0xffffff80, vcc_lo
	v_cmp_class_f64_e64 vcc_lo, v[46:47], 0x260
	s_delay_alu instid0(VALU_DEP_2) | instskip(NEXT) | instid1(VALU_DEP_1)
	v_ldexp_f64 v[48:49], v[50:51], v48
	v_dual_cndmask_b32 v47, v49, v47 :: v_dual_cndmask_b32 v46, v48, v46
	s_delay_alu instid0(VALU_DEP_1) | instskip(NEXT) | instid1(VALU_DEP_1)
	v_div_scale_f64 v[48:49], null, v[46:47], v[46:47], 1.0
	v_rcp_f64_e32 v[50:51], v[48:49]
	v_nop
	s_delay_alu instid0(TRANS32_DEP_1) | instskip(NEXT) | instid1(VALU_DEP_1)
	v_fma_f64 v[52:53], -v[48:49], v[50:51], 1.0
	v_fmac_f64_e32 v[50:51], v[50:51], v[52:53]
	s_delay_alu instid0(VALU_DEP_1) | instskip(NEXT) | instid1(VALU_DEP_1)
	v_fma_f64 v[52:53], -v[48:49], v[50:51], 1.0
	v_fmac_f64_e32 v[50:51], v[50:51], v[52:53]
	v_div_scale_f64 v[52:53], vcc_lo, 1.0, v[46:47], 1.0
	s_delay_alu instid0(VALU_DEP_1) | instskip(NEXT) | instid1(VALU_DEP_1)
	v_mul_f64_e32 v[56:57], v[52:53], v[50:51]
	v_fma_f64 v[48:49], -v[48:49], v[56:57], v[52:53]
	s_delay_alu instid0(VALU_DEP_1) | instskip(NEXT) | instid1(VALU_DEP_1)
	v_div_fmas_f64 v[48:49], v[48:49], v[50:51], v[56:57]
	v_div_fixup_f64 v[46:47], v[48:49], v[46:47], 1.0
	s_delay_alu instid0(VALU_DEP_1)
	v_mul_f64_e32 v[50:51], v[44:45], v[46:47]
.LBB68_220:                             ;   in Loop: Header=BB68_151 Depth=2
	s_or_b32 exec_lo, exec_lo, s5
	v_cmp_eq_u32_e32 vcc_lo, v37, v54
	s_delay_alu instid0(VALU_DEP_2) | instskip(SKIP_1) | instid1(VALU_DEP_4)
	v_xor_b32_e32 v37, 0x80000000, v47
	v_lshl_add_u64 v[40:41], v[40:41], 3, s[50:51]
	v_dual_cndmask_b32 v45, v47, v51 :: v_dual_add_nc_u32 v36, 2, v36
	s_delay_alu instid0(VALU_DEP_3) | instskip(SKIP_1) | instid1(VALU_DEP_4)
	v_dual_cndmask_b32 v44, v46, v50 :: v_dual_cndmask_b32 v47, v51, v37
	v_cndmask_b32_e32 v46, v50, v46, vcc_lo
	v_lshl_add_u64 v[48:49], s[6:7], 3, v[40:41]
	s_clause 0x1
	global_store_b64 v[40:41], v[46:47], off
	global_store_b64 v[48:49], v[44:45], off offset:-8
	global_store_b128 v[38:39], v[2:5], off
	global_store_b64 v[42:43], v[12:13], off
	ds_store_b32 v60, v36 offset:16
	s_wait_xcnt 0x0
	s_or_b32 exec_lo, exec_lo, s33
                                        ; implicit-def: $vgpr3
.LBB68_221:                             ;   in Loop: Header=BB68_151 Depth=2
	s_and_not1_saveexec_b32 s5, s31
.LBB68_222:                             ;   in Loop: Header=BB68_151 Depth=2
	ds_store_b32 v60, v3 offset:16
.LBB68_223:                             ;   in Loop: Header=BB68_151 Depth=2
	s_or_b32 exec_lo, exec_lo, s5
.LBB68_224:                             ;   in Loop: Header=BB68_151 Depth=2
	s_delay_alu instid0(SALU_CYCLE_1)
	s_or_b32 exec_lo, exec_lo, s10
	s_wait_storecnt_dscnt 0x0
	s_barrier_signal -1
	s_barrier_wait -1
	ds_load_b64 v[2:3], v60 offset:16
	s_wait_dscnt 0x0
	v_readfirstlane_b32 s10, v3
	s_delay_alu instid0(VALU_DEP_1)
	v_cmp_eq_u32_e32 vcc_lo, s10, v2
	v_mov_b32_e32 v36, s10
	s_cbranch_vccnz .LBB68_150
; %bb.225:                              ;   in Loop: Header=BB68_151 Depth=2
	s_and_saveexec_b32 s5, s2
	s_cbranch_execz .LBB68_149
; %bb.226:                              ;   in Loop: Header=BB68_151 Depth=2
	ds_load_b32 v2, v60 offset:28
	s_wait_dscnt 0x0
	v_dual_mov_b32 v40, v6 :: v_dual_ashrrev_i32 v3, 31, v2
	v_readfirstlane_b32 s31, v2
	s_delay_alu instid0(VALU_DEP_2)
	v_lshlrev_b64_e32 v[2:3], 3, v[2:3]
	s_sub_co_i32 s78, s10, s31
	s_mul_i32 s80, s31, s11
	s_ashr_i32 s79, s78, 31
	s_ashr_i32 s81, s80, 31
	s_mul_u64 s[82:83], s[78:79], s[52:53]
	s_lshl_b64 s[80:81], s[80:81], 4
	s_lshl_b64 s[82:83], s[82:83], 4
	s_cmp_gt_i32 s78, 0
	s_mov_b32 s31, 0
	s_cselect_b32 s10, -1, 0
	s_add_co_i32 s76, s78, -1
	s_delay_alu instid0(SALU_CYCLE_1) | instskip(NEXT) | instid1(SALU_CYCLE_1)
	s_lshl_b64 s[84:85], s[76:77], 3
	v_add_nc_u64_e32 v[2:3], s[84:85], v[2:3]
	s_mul_u64 s[84:85], s[68:69], s[76:77]
	s_delay_alu instid0(SALU_CYCLE_1) | instskip(SKIP_3) | instid1(VALU_DEP_2)
	s_add_nc_u64 s[84:85], s[84:85], s[80:81]
	s_add_nc_u64 s[80:81], s[48:49], s[80:81]
	v_add_nc_u64_e32 v[38:39], s[84:85], v[10:11]
	s_add_nc_u64 s[82:83], s[80:81], s[82:83]
	v_add_nc_u64_e32 v[36:37], s[50:51], v[2:3]
	s_branch .LBB68_228
.LBB68_227:                             ;   in Loop: Header=BB68_228 Depth=3
	s_wait_xcnt 0x0
	v_add_nc_u32_e32 v40, s36, v40
	v_add_nc_u64_e32 v[38:39], s[70:71], v[38:39]
	s_wait_loadcnt 0x0
	global_store_b128 v[42:43], v[2:5], off
	v_cmp_le_i32_e32 vcc_lo, s6, v40
	s_or_b32 s31, vcc_lo, s31
	s_wait_xcnt 0x0
	s_and_not1_b32 exec_lo, exec_lo, s31
	s_cbranch_execz .LBB68_149
.LBB68_228:                             ;   Parent Loop BB68_7 Depth=1
                                        ;     Parent Loop BB68_151 Depth=2
                                        ; =>    This Loop Header: Depth=3
                                        ;         Child Loop BB68_229 Depth 4
	global_load_b128 v[2:5], v40, s[82:83] scale_offset
	v_ashrrev_i32_e32 v41, 31, v40
	v_mov_b64_e32 v[44:45], v[38:39]
	v_mov_b64_e32 v[46:47], v[36:37]
	s_and_not1_b32 vcc_lo, exec_lo, s10
	s_mov_b32 s76, s78
	v_lshl_add_u64 v[42:43], v[40:41], 4, s[80:81]
	s_cbranch_vccnz .LBB68_227
.LBB68_229:                             ;   Parent Loop BB68_7 Depth=1
                                        ;     Parent Loop BB68_151 Depth=2
                                        ;       Parent Loop BB68_228 Depth=3
                                        ; =>      This Inner Loop Header: Depth=4
	s_wait_xcnt 0x0
	s_delay_alu instid0(VALU_DEP_2)
	v_add_nc_u64_e32 v[52:53], s[64:65], v[46:47]
	s_wait_loadcnt 0x0
	v_mov_b64_e32 v[56:57], v[4:5]
	v_mov_b64_e32 v[58:59], v[2:3]
	s_mul_u64 s[84:85], s[76:77], s[52:53]
	s_add_co_i32 s76, s76, -1
	global_load_b128 v[48:51], v[44:45], off offset:-8
	s_clause 0x1
	global_load_b64 v[52:53], v[52:53], off
	global_load_b64 v[54:55], v[46:47], off
	s_wait_xcnt 0x0
	v_add_nc_u64_e32 v[46:47], -8, v[46:47]
	v_add_nc_u64_e32 v[44:45], s[72:73], v[44:45]
	s_cmp_eq_u32 s76, 0
	s_wait_loadcnt 0x1
	v_mul_f64_e32 v[64:65], v[52:53], v[50:51]
	s_wait_loadcnt 0x0
	v_mul_f64_e32 v[2:3], v[54:55], v[48:49]
	v_mul_f64_e32 v[48:49], v[52:53], v[48:49]
	;; [unrolled: 1-line block ×3, first 2 shown]
	s_delay_alu instid0(VALU_DEP_4) | instskip(NEXT) | instid1(VALU_DEP_4)
	v_fma_f64 v[50:51], v[56:57], v[54:55], -v[64:65]
	v_fmac_f64_e32 v[2:3], v[58:59], v[52:53]
	s_delay_alu instid0(VALU_DEP_4) | instskip(NEXT) | instid1(VALU_DEP_4)
	v_fma_f64 v[48:49], v[58:59], v[54:55], -v[48:49]
	v_fmac_f64_e32 v[4:5], v[56:57], v[52:53]
	v_lshl_add_u64 v[52:53], s[84:85], 4, v[42:43]
	global_store_b128 v[52:53], v[48:51], off
	s_cbranch_scc0 .LBB68_229
	s_branch .LBB68_227
.LBB68_230:                             ;   in Loop: Header=BB68_151 Depth=2
	s_or_b32 exec_lo, exec_lo, s33
                                        ; implicit-def: $vgpr3
	s_and_not1_saveexec_b32 s5, s31
	s_cbranch_execnz .LBB68_222
	s_branch .LBB68_223
.LBB68_231:
	s_mov_b32 s5, exec_lo
	v_cmpx_gt_i32_e64 s38, v6
	s_cbranch_execz .LBB68_237
; %bb.232:
	v_dual_mov_b32 v4, 0 :: v_dual_ashrrev_i32 v7, 31, v6
	s_lshl_b64 s[2:3], s[42:43], 3
	s_lshl_b64 s[24:25], s[40:41], 2
	s_add_nc_u64 s[2:3], s[20:21], s[2:3]
	s_ashr_i32 s37, s36, 31
	v_lshl_add_u64 v[2:3], v[6:7], 3, s[2:3]
	s_add_nc_u64 s[2:3], s[14:15], s[24:25]
	s_lshl_b64 s[14:15], s[36:37], 3
	s_mov_b32 s7, 0
	s_branch .LBB68_234
.LBB68_233:                             ;   in Loop: Header=BB68_234 Depth=1
	s_wait_xcnt 0x0
	s_or_b32 exec_lo, exec_lo, s10
	v_add_nc_u32_e32 v6, s36, v6
	v_add_nc_u64_e32 v[2:3], s[14:15], v[2:3]
	s_delay_alu instid0(VALU_DEP_2) | instskip(SKIP_1) | instid1(SALU_CYCLE_1)
	v_cmp_le_i32_e32 vcc_lo, s38, v6
	s_or_b32 s7, vcc_lo, s7
	s_and_not1_b32 exec_lo, exec_lo, s7
	s_cbranch_execz .LBB68_237
.LBB68_234:                             ; =>This Inner Loop Header: Depth=1
	global_load_b64 v[8:9], v[2:3], off
	s_mov_b32 s10, exec_lo
	s_wait_loadcnt 0x0
	s_wait_xcnt 0x0
	v_cmpx_neq_f64_e32 0, v[8:9]
	s_cbranch_execz .LBB68_233
; %bb.235:                              ;   in Loop: Header=BB68_234 Depth=1
	s_mov_b32 s20, exec_lo
	s_delay_alu instid0(SALU_CYCLE_1) | instskip(NEXT) | instid1(VALU_DEP_1)
	v_mbcnt_lo_u32_b32 v5, s20, 0
	v_cmp_eq_u32_e32 vcc_lo, 0, v5
	s_and_b32 s21, exec_lo, vcc_lo
	s_delay_alu instid0(SALU_CYCLE_1)
	s_mov_b32 exec_lo, s21
	s_cbranch_execz .LBB68_233
; %bb.236:                              ;   in Loop: Header=BB68_234 Depth=1
	s_bcnt1_i32_b32 s20, s20
	s_delay_alu instid0(SALU_CYCLE_1)
	v_mov_b32_e32 v5, s20
	global_atomic_add_u32 v4, v5, s[2:3] scope:SCOPE_DEV
	s_branch .LBB68_233
.LBB68_237:
	s_or_b32 exec_lo, exec_lo, s5
	s_cmp_lt_i32 s6, 2
	s_cbranch_scc1 .LBB68_250
; %bb.238:
	s_load_b64 s[2:3], s[0:1], 0x4
	v_bfe_u32 v2, v0, 10, 10
	v_bfe_u32 v0, v0, 20, 10
	v_mov_b32_e32 v7, 0
	s_wait_kmcnt 0x0
	s_lshr_b32 s0, s2, 16
	v_mul_u32_u24_e32 v2, s3, v2
	s_mul_i32 s0, s0, s3
	s_lshl_b64 s[2:3], s[22:23], 4
	v_mul_lo_u32 v1, s0, v1
	s_lshl_b64 s[0:1], s[12:13], 4
	s_add_nc_u64 s[12:13], s[16:17], s[34:35]
	s_add_nc_u64 s[2:3], s[0:1], s[2:3]
	;; [unrolled: 1-line block ×4, first 2 shown]
	s_mov_b32 s8, 1
	s_delay_alu instid0(VALU_DEP_1) | instskip(NEXT) | instid1(VALU_DEP_1)
	v_add3_u32 v0, v1, v2, v0
	v_lshl_add_u32 v6, v0, 4, 48
	s_branch .LBB68_240
.LBB68_239:                             ;   in Loop: Header=BB68_240 Depth=1
	s_add_co_i32 s8, s8, 1
	s_add_nc_u64 s[0:1], s[0:1], 8
	s_cmp_lg_u32 s8, s6
	s_wait_storecnt_dscnt 0x0
	s_barrier_signal -1
	s_barrier_wait -1
	s_cbranch_scc0 .LBB68_250
.LBB68_240:                             ; =>This Loop Header: Depth=1
                                        ;     Child Loop BB68_243 Depth 2
                                        ;     Child Loop BB68_249 Depth 2
	s_and_saveexec_b32 s5, s4
	s_cbranch_execz .LBB68_247
; %bb.241:                              ;   in Loop: Header=BB68_240 Depth=1
	s_add_co_i32 s7, s8, -1
	s_delay_alu instid0(SALU_CYCLE_1)
	v_dual_mov_b32 v0, s8 :: v_dual_mov_b32 v4, s7
	s_ashr_i32 s9, s8, 31
	v_mov_b32_e32 v5, s7
	s_lshl_b64 s[12:13], s[8:9], 3
	global_load_b64 v[0:1], v0, s[18:19] offset:-8 scale_offset
	s_add_nc_u64 s[12:13], s[18:19], s[12:13]
	s_mov_b64 s[14:15], s[0:1]
	s_mov_b32 s10, s7
	s_mov_b32 s9, s8
	s_wait_loadcnt 0x0
	v_mov_b64_e32 v[2:3], v[0:1]
	ds_store_2addr_b64 v7, v[0:1], v[4:5] offset1:2
	s_branch .LBB68_243
.LBB68_242:                             ;   in Loop: Header=BB68_243 Depth=2
	s_add_co_i32 s9, s9, 1
	s_wait_xcnt 0x0
	s_add_nc_u64 s[14:15], s[14:15], 8
	s_cmp_eq_u32 s6, s9
	s_cbranch_scc1 .LBB68_245
.LBB68_243:                             ;   Parent Loop BB68_240 Depth=1
                                        ; =>  This Inner Loop Header: Depth=2
	global_load_b64 v[4:5], v7, s[14:15]
	s_wait_loadcnt 0x0
	v_cmp_nlt_f64_e32 vcc_lo, v[4:5], v[2:3]
	s_cbranch_vccnz .LBB68_242
; %bb.244:                              ;   in Loop: Header=BB68_243 Depth=2
	v_mov_b64_e32 v[2:3], v[4:5]
	v_mov_b32_e32 v8, s9
	s_mov_b32 s10, s9
	ds_store_b32 v7, v8 offset:20
	ds_store_b64 v7, v[4:5]
	s_branch .LBB68_242
.LBB68_245:                             ;   in Loop: Header=BB68_240 Depth=1
	s_cmp_lg_u32 s10, s7
	s_cbranch_scc0 .LBB68_247
; %bb.246:                              ;   in Loop: Header=BB68_240 Depth=1
	v_mov_b32_e32 v4, s10
	s_clause 0x1
	global_store_b64 v4, v[0:1], s[18:19] scale_offset
	global_store_b64 v7, v[2:3], s[12:13] offset:-8
.LBB68_247:                             ;   in Loop: Header=BB68_240 Depth=1
	s_wait_xcnt 0x0
	s_or_b32 exec_lo, exec_lo, s5
	s_wait_storecnt_dscnt 0x0
	s_barrier_signal -1
	s_barrier_wait -1
	ds_load_b64 v[0:1], v7 offset:16
	s_wait_dscnt 0x0
	v_readfirstlane_b32 s5, v0
	v_readfirstlane_b32 s7, v1
	s_cmp_eq_u32 s7, s5
	s_cbranch_scc1 .LBB68_239
; %bb.248:                              ;   in Loop: Header=BB68_240 Depth=1
	s_mul_i32 s12, s7, s11
	s_mul_i32 s14, s5, s11
	s_ashr_i32 s13, s12, 31
	s_ashr_i32 s15, s14, 31
	s_lshl_b64 s[12:13], s[12:13], 4
	s_lshl_b64 s[14:15], s[14:15], 4
	s_add_nc_u64 s[12:13], s[2:3], s[12:13]
	s_add_nc_u64 s[14:15], s[2:3], s[14:15]
	s_mov_b32 s5, s6
.LBB68_249:                             ;   Parent Loop BB68_240 Depth=1
                                        ; =>  This Inner Loop Header: Depth=2
	s_clause 0x1
	global_load_b128 v[0:3], v7, s[12:13]
	global_load_b128 v[8:11], v7, s[14:15]
	s_add_co_i32 s5, s5, -1
	s_wait_loadcnt 0x1
	global_store_b128 v7, v[0:3], s[14:15]
	s_wait_loadcnt 0x0
	global_store_b128 v7, v[8:11], s[12:13]
	s_cmp_lg_u32 s5, 0
	s_wait_xcnt 0x0
	s_add_nc_u64 s[12:13], s[12:13], 16
	s_add_nc_u64 s[14:15], s[14:15], 16
	ds_store_2addr_b64 v6, v[8:9], v[10:11] offset1:1
	s_cbranch_scc1 .LBB68_249
	s_branch .LBB68_239
.LBB68_250:
	s_sendmsg sendmsg(MSG_DEALLOC_VGPRS)
	s_endpgm
	.section	.rodata,"a",@progbits
	.p2align	6, 0x0
	.amdhsa_kernel _ZN9rocsolver6v33100L12steqr_kernelI19rocblas_complex_numIdEdPS3_EEviPT0_lS6_lT1_iilPiS6_iS5_S5_S5_
		.amdhsa_group_segment_fixed_size 16432
		.amdhsa_private_segment_fixed_size 0
		.amdhsa_kernarg_size 368
		.amdhsa_user_sgpr_count 4
		.amdhsa_user_sgpr_dispatch_ptr 1
		.amdhsa_user_sgpr_queue_ptr 0
		.amdhsa_user_sgpr_kernarg_segment_ptr 1
		.amdhsa_user_sgpr_dispatch_id 0
		.amdhsa_user_sgpr_kernarg_preload_length 0
		.amdhsa_user_sgpr_kernarg_preload_offset 0
		.amdhsa_user_sgpr_private_segment_size 0
		.amdhsa_wavefront_size32 1
		.amdhsa_uses_dynamic_stack 0
		.amdhsa_enable_private_segment 0
		.amdhsa_system_sgpr_workgroup_id_x 1
		.amdhsa_system_sgpr_workgroup_id_y 1
		.amdhsa_system_sgpr_workgroup_id_z 0
		.amdhsa_system_sgpr_workgroup_info 0
		.amdhsa_system_vgpr_workitem_id 2
		.amdhsa_next_free_vgpr 74
		.amdhsa_next_free_sgpr 90
		.amdhsa_named_barrier_count 0
		.amdhsa_reserve_vcc 1
		.amdhsa_float_round_mode_32 0
		.amdhsa_float_round_mode_16_64 0
		.amdhsa_float_denorm_mode_32 3
		.amdhsa_float_denorm_mode_16_64 3
		.amdhsa_fp16_overflow 0
		.amdhsa_memory_ordered 1
		.amdhsa_forward_progress 1
		.amdhsa_inst_pref_size 120
		.amdhsa_round_robin_scheduling 0
		.amdhsa_exception_fp_ieee_invalid_op 0
		.amdhsa_exception_fp_denorm_src 0
		.amdhsa_exception_fp_ieee_div_zero 0
		.amdhsa_exception_fp_ieee_overflow 0
		.amdhsa_exception_fp_ieee_underflow 0
		.amdhsa_exception_fp_ieee_inexact 0
		.amdhsa_exception_int_div_zero 0
	.end_amdhsa_kernel
	.section	.text._ZN9rocsolver6v33100L12steqr_kernelI19rocblas_complex_numIdEdPS3_EEviPT0_lS6_lT1_iilPiS6_iS5_S5_S5_,"axG",@progbits,_ZN9rocsolver6v33100L12steqr_kernelI19rocblas_complex_numIdEdPS3_EEviPT0_lS6_lT1_iilPiS6_iS5_S5_S5_,comdat
.Lfunc_end68:
	.size	_ZN9rocsolver6v33100L12steqr_kernelI19rocblas_complex_numIdEdPS3_EEviPT0_lS6_lT1_iilPiS6_iS5_S5_S5_, .Lfunc_end68-_ZN9rocsolver6v33100L12steqr_kernelI19rocblas_complex_numIdEdPS3_EEviPT0_lS6_lT1_iilPiS6_iS5_S5_S5_
                                        ; -- End function
	.set _ZN9rocsolver6v33100L12steqr_kernelI19rocblas_complex_numIdEdPS3_EEviPT0_lS6_lT1_iilPiS6_iS5_S5_S5_.num_vgpr, 74
	.set _ZN9rocsolver6v33100L12steqr_kernelI19rocblas_complex_numIdEdPS3_EEviPT0_lS6_lT1_iilPiS6_iS5_S5_S5_.num_agpr, 0
	.set _ZN9rocsolver6v33100L12steqr_kernelI19rocblas_complex_numIdEdPS3_EEviPT0_lS6_lT1_iilPiS6_iS5_S5_S5_.numbered_sgpr, 90
	.set _ZN9rocsolver6v33100L12steqr_kernelI19rocblas_complex_numIdEdPS3_EEviPT0_lS6_lT1_iilPiS6_iS5_S5_S5_.num_named_barrier, 0
	.set _ZN9rocsolver6v33100L12steqr_kernelI19rocblas_complex_numIdEdPS3_EEviPT0_lS6_lT1_iilPiS6_iS5_S5_S5_.private_seg_size, 0
	.set _ZN9rocsolver6v33100L12steqr_kernelI19rocblas_complex_numIdEdPS3_EEviPT0_lS6_lT1_iilPiS6_iS5_S5_S5_.uses_vcc, 1
	.set _ZN9rocsolver6v33100L12steqr_kernelI19rocblas_complex_numIdEdPS3_EEviPT0_lS6_lT1_iilPiS6_iS5_S5_S5_.uses_flat_scratch, 0
	.set _ZN9rocsolver6v33100L12steqr_kernelI19rocblas_complex_numIdEdPS3_EEviPT0_lS6_lT1_iilPiS6_iS5_S5_S5_.has_dyn_sized_stack, 0
	.set _ZN9rocsolver6v33100L12steqr_kernelI19rocblas_complex_numIdEdPS3_EEviPT0_lS6_lT1_iilPiS6_iS5_S5_S5_.has_recursion, 0
	.set _ZN9rocsolver6v33100L12steqr_kernelI19rocblas_complex_numIdEdPS3_EEviPT0_lS6_lT1_iilPiS6_iS5_S5_S5_.has_indirect_call, 0
	.section	.AMDGPU.csdata,"",@progbits
; Kernel info:
; codeLenInByte = 15340
; TotalNumSgprs: 92
; NumVgprs: 74
; ScratchSize: 0
; MemoryBound: 0
; FloatMode: 240
; IeeeMode: 1
; LDSByteSize: 16432 bytes/workgroup (compile time only)
; SGPRBlocks: 0
; VGPRBlocks: 4
; NumSGPRsForWavesPerEU: 92
; NumVGPRsForWavesPerEU: 74
; NamedBarCnt: 0
; Occupancy: 12
; WaveLimiterHint : 0
; COMPUTE_PGM_RSRC2:SCRATCH_EN: 0
; COMPUTE_PGM_RSRC2:USER_SGPR: 4
; COMPUTE_PGM_RSRC2:TRAP_HANDLER: 0
; COMPUTE_PGM_RSRC2:TGID_X_EN: 1
; COMPUTE_PGM_RSRC2:TGID_Y_EN: 1
; COMPUTE_PGM_RSRC2:TGID_Z_EN: 0
; COMPUTE_PGM_RSRC2:TIDIG_COMP_CNT: 2
	.section	.text._ZN9rocsolver6v33100L8copy_matI19rocblas_complex_numIdEdLb0EPS3_TnNSt9enable_ifIX18rocblas_is_complexIT_EEiE4typeELi0EEEvNS0_17copymat_directionEiiT2_iilPT0_13rocblas_fill_17rocblas_diagonal_,"axG",@progbits,_ZN9rocsolver6v33100L8copy_matI19rocblas_complex_numIdEdLb0EPS3_TnNSt9enable_ifIX18rocblas_is_complexIT_EEiE4typeELi0EEEvNS0_17copymat_directionEiiT2_iilPT0_13rocblas_fill_17rocblas_diagonal_,comdat
	.globl	_ZN9rocsolver6v33100L8copy_matI19rocblas_complex_numIdEdLb0EPS3_TnNSt9enable_ifIX18rocblas_is_complexIT_EEiE4typeELi0EEEvNS0_17copymat_directionEiiT2_iilPT0_13rocblas_fill_17rocblas_diagonal_ ; -- Begin function _ZN9rocsolver6v33100L8copy_matI19rocblas_complex_numIdEdLb0EPS3_TnNSt9enable_ifIX18rocblas_is_complexIT_EEiE4typeELi0EEEvNS0_17copymat_directionEiiT2_iilPT0_13rocblas_fill_17rocblas_diagonal_
	.p2align	8
	.type	_ZN9rocsolver6v33100L8copy_matI19rocblas_complex_numIdEdLb0EPS3_TnNSt9enable_ifIX18rocblas_is_complexIT_EEiE4typeELi0EEEvNS0_17copymat_directionEiiT2_iilPT0_13rocblas_fill_17rocblas_diagonal_,@function
_ZN9rocsolver6v33100L8copy_matI19rocblas_complex_numIdEdLb0EPS3_TnNSt9enable_ifIX18rocblas_is_complexIT_EEiE4typeELi0EEEvNS0_17copymat_directionEiiT2_iilPT0_13rocblas_fill_17rocblas_diagonal_: ; @_ZN9rocsolver6v33100L8copy_matI19rocblas_complex_numIdEdLb0EPS3_TnNSt9enable_ifIX18rocblas_is_complexIT_EEiE4typeELi0EEEvNS0_17copymat_directionEiiT2_iilPT0_13rocblas_fill_17rocblas_diagonal_
; %bb.0:
	s_clause 0x1
	s_load_b32 s2, s[0:1], 0x44
	s_load_b96 s[12:14], s[0:1], 0x0
	s_bfe_u32 s5, ttmp6, 0x4000c
	s_bfe_u32 s7, ttmp6, 0x40010
	s_and_b32 s6, ttmp7, 0xffff
	s_add_co_i32 s5, s5, 1
	s_add_co_i32 s7, s7, 1
	s_and_b32 s4, ttmp6, 15
	s_bfe_u32 s8, ttmp6, 0x40004
	s_mul_i32 s5, ttmp9, s5
	s_mul_i32 s7, s6, s7
	s_getreg_b32 s3, hwreg(HW_REG_IB_STS2, 6, 4)
	v_bfe_u32 v1, v0, 10, 10
	v_and_b32_e32 v0, 0x3ff, v0
	s_add_co_i32 s4, s4, s5
	s_add_co_i32 s8, s8, s7
	s_wait_kmcnt 0x0
	s_lshr_b32 s5, s2, 16
	s_and_b32 s2, s2, 0xffff
	s_cmp_eq_u32 s3, 0
	s_cselect_b32 s4, ttmp9, s4
	s_cselect_b32 s6, s6, s8
	v_mad_u32 v0, s4, s2, v0
	v_mad_u32 v1, s6, s5, v1
	s_delay_alu instid0(VALU_DEP_2) | instskip(NEXT) | instid1(VALU_DEP_2)
	v_cmp_gt_u32_e32 vcc_lo, s13, v0
	v_cmp_gt_u32_e64 s2, s14, v1
	s_and_b32 s2, s2, vcc_lo
	s_delay_alu instid0(SALU_CYCLE_1)
	s_and_saveexec_b32 s4, s2
	s_cbranch_execz .LBB69_16
; %bb.1:
	s_load_b64 s[4:5], s[0:1], 0x30
	s_wait_kmcnt 0x0
	s_cmp_lt_i32 s4, 0x7a
	s_cbranch_scc1 .LBB69_4
; %bb.2:
	s_cmp_gt_i32 s4, 0x7a
	s_cbranch_scc0 .LBB69_5
; %bb.3:
	s_cmp_lg_u32 s4, 0x7b
	s_mov_b32 s6, -1
	s_cselect_b32 s7, -1, 0
	s_cbranch_execz .LBB69_6
	s_branch .LBB69_7
.LBB69_4:
	s_mov_b32 s7, 0
	s_mov_b32 s6, 0
	s_cbranch_execnz .LBB69_8
	s_branch .LBB69_10
.LBB69_5:
	s_mov_b32 s6, 0
	s_mov_b32 s7, 0
.LBB69_6:
	v_cmp_gt_u32_e32 vcc_lo, v0, v1
	v_cmp_le_u32_e64 s2, v0, v1
	s_and_not1_b32 s6, s6, exec_lo
	s_and_not1_b32 s7, s7, exec_lo
	s_and_b32 s8, vcc_lo, exec_lo
	s_and_b32 s2, s2, exec_lo
	s_or_b32 s6, s6, s8
	s_or_b32 s7, s7, s2
.LBB69_7:
	s_branch .LBB69_10
.LBB69_8:
	s_cmp_eq_u32 s4, 0x79
	s_mov_b32 s7, -1
	s_cbranch_scc0 .LBB69_10
; %bb.9:
	v_cmp_gt_u32_e32 vcc_lo, v1, v0
	v_cmp_le_u32_e64 s2, v1, v0
	s_and_not1_b32 s4, s6, exec_lo
	s_and_b32 s6, vcc_lo, exec_lo
	s_or_not1_b32 s7, s2, exec_lo
	s_or_b32 s6, s4, s6
.LBB69_10:
	s_and_saveexec_b32 s2, s7
; %bb.11:
	v_cmp_eq_u32_e32 vcc_lo, v0, v1
	s_cmp_eq_u32 s5, 0x83
	s_cselect_b32 s4, -1, 0
	s_and_not1_b32 s5, s6, exec_lo
	s_and_b32 s4, s4, vcc_lo
	s_delay_alu instid0(SALU_CYCLE_1) | instskip(NEXT) | instid1(SALU_CYCLE_1)
	s_and_b32 s4, s4, exec_lo
	s_or_b32 s6, s5, s4
; %bb.12:
	s_or_b32 exec_lo, exec_lo, s2
	s_delay_alu instid0(SALU_CYCLE_1)
	s_and_b32 exec_lo, exec_lo, s6
	s_cbranch_execz .LBB69_16
; %bb.13:
	s_load_b256 s[4:11], s[0:1], 0x10
	s_wait_xcnt 0x0
	s_bfe_u32 s0, ttmp6, 0x40014
	s_lshr_b32 s2, ttmp7, 16
	s_add_co_i32 s0, s0, 1
	s_ashr_i32 s17, s13, 31
	s_mov_b32 s16, s13
	s_bfe_u32 s13, ttmp6, 0x40008
	s_mul_i32 s0, s2, s0
	s_ashr_i32 s15, s14, 31
	s_add_co_i32 s13, s13, s0
	s_mov_b32 s1, 0
	v_mad_u32 v2, v1, s16, v0
	v_mov_b32_e32 v5, 0
	s_wait_kmcnt 0x0
	s_ashr_i32 s19, s6, 31
	s_cmp_eq_u32 s3, 0
	v_mad_u32 v4, v1, s7, v0
	s_cselect_b32 s0, s2, s13
	s_mov_b32 s18, s6
	s_mul_u64 s[2:3], s[8:9], s[0:1]
	s_mul_u64 s[6:7], s[16:17], s[0:1]
	s_lshl_b64 s[2:3], s[2:3], 4
	s_delay_alu instid0(SALU_CYCLE_1) | instskip(SKIP_1) | instid1(SALU_CYCLE_1)
	s_add_nc_u64 s[2:3], s[4:5], s[2:3]
	s_lshl_b64 s[4:5], s[18:19], 4
	s_add_nc_u64 s[2:3], s[2:3], s[4:5]
	s_mul_u64 s[4:5], s[6:7], s[14:15]
	s_delay_alu instid0(VALU_DEP_1)
	v_lshl_add_u64 v[0:1], v[4:5], 4, s[2:3]
	s_lshl_b64 s[2:3], s[4:5], 3
	s_cmp_lg_u32 s12, 0
	s_add_nc_u64 s[2:3], s[10:11], s[2:3]
	s_cbranch_scc0 .LBB69_17
; %bb.14:
	global_load_b64 v[4:5], v2, s[2:3] scale_offset
	s_wait_loadcnt 0x0
	global_store_b64 v[0:1], v[4:5], off offset:8
	s_and_not1_b32 vcc_lo, exec_lo, s1
	s_cbranch_vccnz .LBB69_16
.LBB69_15:
	global_load_b64 v[0:1], v[0:1], off offset:8
	s_wait_loadcnt 0x0
	global_store_b64 v2, v[0:1], s[2:3] scale_offset
.LBB69_16:
	s_endpgm
.LBB69_17:
	s_branch .LBB69_15
	.section	.rodata,"a",@progbits
	.p2align	6, 0x0
	.amdhsa_kernel _ZN9rocsolver6v33100L8copy_matI19rocblas_complex_numIdEdLb0EPS3_TnNSt9enable_ifIX18rocblas_is_complexIT_EEiE4typeELi0EEEvNS0_17copymat_directionEiiT2_iilPT0_13rocblas_fill_17rocblas_diagonal_
		.amdhsa_group_segment_fixed_size 0
		.amdhsa_private_segment_fixed_size 0
		.amdhsa_kernarg_size 312
		.amdhsa_user_sgpr_count 2
		.amdhsa_user_sgpr_dispatch_ptr 0
		.amdhsa_user_sgpr_queue_ptr 0
		.amdhsa_user_sgpr_kernarg_segment_ptr 1
		.amdhsa_user_sgpr_dispatch_id 0
		.amdhsa_user_sgpr_kernarg_preload_length 0
		.amdhsa_user_sgpr_kernarg_preload_offset 0
		.amdhsa_user_sgpr_private_segment_size 0
		.amdhsa_wavefront_size32 1
		.amdhsa_uses_dynamic_stack 0
		.amdhsa_enable_private_segment 0
		.amdhsa_system_sgpr_workgroup_id_x 1
		.amdhsa_system_sgpr_workgroup_id_y 1
		.amdhsa_system_sgpr_workgroup_id_z 1
		.amdhsa_system_sgpr_workgroup_info 0
		.amdhsa_system_vgpr_workitem_id 1
		.amdhsa_next_free_vgpr 6
		.amdhsa_next_free_sgpr 20
		.amdhsa_named_barrier_count 0
		.amdhsa_reserve_vcc 1
		.amdhsa_float_round_mode_32 0
		.amdhsa_float_round_mode_16_64 0
		.amdhsa_float_denorm_mode_32 3
		.amdhsa_float_denorm_mode_16_64 3
		.amdhsa_fp16_overflow 0
		.amdhsa_memory_ordered 1
		.amdhsa_forward_progress 1
		.amdhsa_inst_pref_size 5
		.amdhsa_round_robin_scheduling 0
		.amdhsa_exception_fp_ieee_invalid_op 0
		.amdhsa_exception_fp_denorm_src 0
		.amdhsa_exception_fp_ieee_div_zero 0
		.amdhsa_exception_fp_ieee_overflow 0
		.amdhsa_exception_fp_ieee_underflow 0
		.amdhsa_exception_fp_ieee_inexact 0
		.amdhsa_exception_int_div_zero 0
	.end_amdhsa_kernel
	.section	.text._ZN9rocsolver6v33100L8copy_matI19rocblas_complex_numIdEdLb0EPS3_TnNSt9enable_ifIX18rocblas_is_complexIT_EEiE4typeELi0EEEvNS0_17copymat_directionEiiT2_iilPT0_13rocblas_fill_17rocblas_diagonal_,"axG",@progbits,_ZN9rocsolver6v33100L8copy_matI19rocblas_complex_numIdEdLb0EPS3_TnNSt9enable_ifIX18rocblas_is_complexIT_EEiE4typeELi0EEEvNS0_17copymat_directionEiiT2_iilPT0_13rocblas_fill_17rocblas_diagonal_,comdat
.Lfunc_end69:
	.size	_ZN9rocsolver6v33100L8copy_matI19rocblas_complex_numIdEdLb0EPS3_TnNSt9enable_ifIX18rocblas_is_complexIT_EEiE4typeELi0EEEvNS0_17copymat_directionEiiT2_iilPT0_13rocblas_fill_17rocblas_diagonal_, .Lfunc_end69-_ZN9rocsolver6v33100L8copy_matI19rocblas_complex_numIdEdLb0EPS3_TnNSt9enable_ifIX18rocblas_is_complexIT_EEiE4typeELi0EEEvNS0_17copymat_directionEiiT2_iilPT0_13rocblas_fill_17rocblas_diagonal_
                                        ; -- End function
	.set _ZN9rocsolver6v33100L8copy_matI19rocblas_complex_numIdEdLb0EPS3_TnNSt9enable_ifIX18rocblas_is_complexIT_EEiE4typeELi0EEEvNS0_17copymat_directionEiiT2_iilPT0_13rocblas_fill_17rocblas_diagonal_.num_vgpr, 6
	.set _ZN9rocsolver6v33100L8copy_matI19rocblas_complex_numIdEdLb0EPS3_TnNSt9enable_ifIX18rocblas_is_complexIT_EEiE4typeELi0EEEvNS0_17copymat_directionEiiT2_iilPT0_13rocblas_fill_17rocblas_diagonal_.num_agpr, 0
	.set _ZN9rocsolver6v33100L8copy_matI19rocblas_complex_numIdEdLb0EPS3_TnNSt9enable_ifIX18rocblas_is_complexIT_EEiE4typeELi0EEEvNS0_17copymat_directionEiiT2_iilPT0_13rocblas_fill_17rocblas_diagonal_.numbered_sgpr, 20
	.set _ZN9rocsolver6v33100L8copy_matI19rocblas_complex_numIdEdLb0EPS3_TnNSt9enable_ifIX18rocblas_is_complexIT_EEiE4typeELi0EEEvNS0_17copymat_directionEiiT2_iilPT0_13rocblas_fill_17rocblas_diagonal_.num_named_barrier, 0
	.set _ZN9rocsolver6v33100L8copy_matI19rocblas_complex_numIdEdLb0EPS3_TnNSt9enable_ifIX18rocblas_is_complexIT_EEiE4typeELi0EEEvNS0_17copymat_directionEiiT2_iilPT0_13rocblas_fill_17rocblas_diagonal_.private_seg_size, 0
	.set _ZN9rocsolver6v33100L8copy_matI19rocblas_complex_numIdEdLb0EPS3_TnNSt9enable_ifIX18rocblas_is_complexIT_EEiE4typeELi0EEEvNS0_17copymat_directionEiiT2_iilPT0_13rocblas_fill_17rocblas_diagonal_.uses_vcc, 1
	.set _ZN9rocsolver6v33100L8copy_matI19rocblas_complex_numIdEdLb0EPS3_TnNSt9enable_ifIX18rocblas_is_complexIT_EEiE4typeELi0EEEvNS0_17copymat_directionEiiT2_iilPT0_13rocblas_fill_17rocblas_diagonal_.uses_flat_scratch, 0
	.set _ZN9rocsolver6v33100L8copy_matI19rocblas_complex_numIdEdLb0EPS3_TnNSt9enable_ifIX18rocblas_is_complexIT_EEiE4typeELi0EEEvNS0_17copymat_directionEiiT2_iilPT0_13rocblas_fill_17rocblas_diagonal_.has_dyn_sized_stack, 0
	.set _ZN9rocsolver6v33100L8copy_matI19rocblas_complex_numIdEdLb0EPS3_TnNSt9enable_ifIX18rocblas_is_complexIT_EEiE4typeELi0EEEvNS0_17copymat_directionEiiT2_iilPT0_13rocblas_fill_17rocblas_diagonal_.has_recursion, 0
	.set _ZN9rocsolver6v33100L8copy_matI19rocblas_complex_numIdEdLb0EPS3_TnNSt9enable_ifIX18rocblas_is_complexIT_EEiE4typeELi0EEEvNS0_17copymat_directionEiiT2_iilPT0_13rocblas_fill_17rocblas_diagonal_.has_indirect_call, 0
	.section	.AMDGPU.csdata,"",@progbits
; Kernel info:
; codeLenInByte = 632
; TotalNumSgprs: 22
; NumVgprs: 6
; ScratchSize: 0
; MemoryBound: 0
; FloatMode: 240
; IeeeMode: 1
; LDSByteSize: 0 bytes/workgroup (compile time only)
; SGPRBlocks: 0
; VGPRBlocks: 0
; NumSGPRsForWavesPerEU: 22
; NumVGPRsForWavesPerEU: 6
; NamedBarCnt: 0
; Occupancy: 16
; WaveLimiterHint : 0
; COMPUTE_PGM_RSRC2:SCRATCH_EN: 0
; COMPUTE_PGM_RSRC2:USER_SGPR: 2
; COMPUTE_PGM_RSRC2:TRAP_HANDLER: 0
; COMPUTE_PGM_RSRC2:TGID_X_EN: 1
; COMPUTE_PGM_RSRC2:TGID_Y_EN: 1
; COMPUTE_PGM_RSRC2:TGID_Z_EN: 1
; COMPUTE_PGM_RSRC2:TIDIG_COMP_CNT: 1
	.section	.text._ZN9rocsolver6v33100L8set_zeroI19rocblas_complex_numIdEPS3_EEviiT0_iil13rocblas_fill_,"axG",@progbits,_ZN9rocsolver6v33100L8set_zeroI19rocblas_complex_numIdEPS3_EEviiT0_iil13rocblas_fill_,comdat
	.globl	_ZN9rocsolver6v33100L8set_zeroI19rocblas_complex_numIdEPS3_EEviiT0_iil13rocblas_fill_ ; -- Begin function _ZN9rocsolver6v33100L8set_zeroI19rocblas_complex_numIdEPS3_EEviiT0_iil13rocblas_fill_
	.p2align	8
	.type	_ZN9rocsolver6v33100L8set_zeroI19rocblas_complex_numIdEPS3_EEviiT0_iil13rocblas_fill_,@function
_ZN9rocsolver6v33100L8set_zeroI19rocblas_complex_numIdEPS3_EEviiT0_iil13rocblas_fill_: ; @_ZN9rocsolver6v33100L8set_zeroI19rocblas_complex_numIdEPS3_EEviiT0_iil13rocblas_fill_
; %bb.0:
	s_clause 0x1
	s_load_b32 s2, s[0:1], 0x34
	s_load_b64 s[4:5], s[0:1], 0x0
	s_bfe_u32 s7, ttmp6, 0x40010
	s_bfe_u32 s10, ttmp6, 0x4000c
	s_and_b32 s6, ttmp7, 0xffff
	s_add_co_i32 s7, s7, 1
	s_add_co_i32 s10, s10, 1
	s_bfe_u32 s8, ttmp6, 0x40004
	s_and_b32 s9, ttmp6, 15
	s_mul_i32 s7, s6, s7
	s_mul_i32 s10, ttmp9, s10
	s_getreg_b32 s3, hwreg(HW_REG_IB_STS2, 6, 4)
	v_and_b32_e32 v1, 0x3ff, v0
	v_bfe_u32 v2, v0, 10, 10
	s_add_co_i32 s8, s8, s7
	s_add_co_i32 s9, s9, s10
	s_wait_kmcnt 0x0
	s_lshr_b32 s7, s2, 16
	s_and_b32 s2, s2, 0xffff
	s_cmp_eq_u32 s3, 0
	s_cselect_b32 s9, ttmp9, s9
	s_cselect_b32 s6, s6, s8
	v_mad_u32 v0, s9, s2, v1
	v_mad_u32 v1, s6, s7, v2
	s_delay_alu instid0(VALU_DEP_2) | instskip(NEXT) | instid1(VALU_DEP_2)
	v_cmp_gt_u32_e32 vcc_lo, s4, v0
	v_cmp_gt_u32_e64 s2, s5, v1
	s_and_b32 s2, vcc_lo, s2
	s_delay_alu instid0(SALU_CYCLE_1)
	s_and_saveexec_b32 s4, s2
	s_cbranch_execz .LBB70_12
; %bb.1:
	s_load_b32 s4, s[0:1], 0x20
	s_wait_kmcnt 0x0
	s_cmp_lt_i32 s4, 0x7a
	s_cbranch_scc1 .LBB70_4
; %bb.2:
	s_cmp_gt_i32 s4, 0x7a
	s_cbranch_scc0 .LBB70_5
; %bb.3:
	s_cmp_eq_u32 s4, 0x7b
	s_cselect_b32 s2, -1, 0
	s_cbranch_execz .LBB70_6
	s_branch .LBB70_7
.LBB70_4:
	s_mov_b32 s2, 0
	s_cbranch_execnz .LBB70_8
	s_branch .LBB70_10
.LBB70_5:
	s_mov_b32 s2, 0
.LBB70_6:
	v_cmp_gt_u32_e32 vcc_lo, v1, v0
	s_and_not1_b32 s2, s2, exec_lo
	s_and_b32 s5, vcc_lo, exec_lo
	s_delay_alu instid0(SALU_CYCLE_1)
	s_or_b32 s2, s2, s5
.LBB70_7:
	s_branch .LBB70_10
.LBB70_8:
	s_cmp_eq_u32 s4, 0x79
	s_cbranch_scc0 .LBB70_10
; %bb.9:
	v_cmp_gt_u32_e32 vcc_lo, v0, v1
	s_and_not1_b32 s2, s2, exec_lo
	s_and_b32 s4, vcc_lo, exec_lo
	s_delay_alu instid0(SALU_CYCLE_1)
	s_or_b32 s2, s2, s4
.LBB70_10:
	s_delay_alu instid0(SALU_CYCLE_1)
	s_and_b32 exec_lo, exec_lo, s2
	s_cbranch_execz .LBB70_12
; %bb.11:
	s_clause 0x1
	s_load_b128 s[4:7], s[0:1], 0x8
	s_load_b64 s[8:9], s[0:1], 0x18
	s_wait_xcnt 0x0
	s_bfe_u32 s0, ttmp6, 0x40014
	s_lshr_b32 s2, ttmp7, 16
	s_add_co_i32 s0, s0, 1
	s_bfe_u32 s10, ttmp6, 0x40008
	s_mul_i32 s0, s2, s0
	s_mov_b32 s1, 0
	s_add_co_i32 s10, s10, s0
	v_mov_b32_e32 v2, 0
	s_delay_alu instid0(VALU_DEP_1)
	v_dual_mov_b32 v3, v2 :: v_dual_mov_b32 v4, v2
	v_mov_b32_e32 v5, v2
	s_wait_kmcnt 0x0
	s_ashr_i32 s11, s6, 31
	s_cmp_eq_u32 s3, 0
	v_mad_u32 v0, v1, s7, v0
	s_cselect_b32 s0, s2, s10
	s_mov_b32 s10, s6
	s_mul_u64 s[0:1], s[8:9], s[0:1]
	s_lshl_b64 s[2:3], s[10:11], 4
	s_lshl_b64 s[0:1], s[0:1], 4
	s_delay_alu instid0(SALU_CYCLE_1) | instskip(NEXT) | instid1(SALU_CYCLE_1)
	s_add_nc_u64 s[0:1], s[4:5], s[0:1]
	s_add_nc_u64 s[0:1], s[0:1], s[2:3]
	global_store_b128 v0, v[2:5], s[0:1] scale_offset
.LBB70_12:
	s_endpgm
	.section	.rodata,"a",@progbits
	.p2align	6, 0x0
	.amdhsa_kernel _ZN9rocsolver6v33100L8set_zeroI19rocblas_complex_numIdEPS3_EEviiT0_iil13rocblas_fill_
		.amdhsa_group_segment_fixed_size 0
		.amdhsa_private_segment_fixed_size 0
		.amdhsa_kernarg_size 296
		.amdhsa_user_sgpr_count 2
		.amdhsa_user_sgpr_dispatch_ptr 0
		.amdhsa_user_sgpr_queue_ptr 0
		.amdhsa_user_sgpr_kernarg_segment_ptr 1
		.amdhsa_user_sgpr_dispatch_id 0
		.amdhsa_user_sgpr_kernarg_preload_length 0
		.amdhsa_user_sgpr_kernarg_preload_offset 0
		.amdhsa_user_sgpr_private_segment_size 0
		.amdhsa_wavefront_size32 1
		.amdhsa_uses_dynamic_stack 0
		.amdhsa_enable_private_segment 0
		.amdhsa_system_sgpr_workgroup_id_x 1
		.amdhsa_system_sgpr_workgroup_id_y 1
		.amdhsa_system_sgpr_workgroup_id_z 1
		.amdhsa_system_sgpr_workgroup_info 0
		.amdhsa_system_vgpr_workitem_id 1
		.amdhsa_next_free_vgpr 6
		.amdhsa_next_free_sgpr 12
		.amdhsa_named_barrier_count 0
		.amdhsa_reserve_vcc 1
		.amdhsa_float_round_mode_32 0
		.amdhsa_float_round_mode_16_64 0
		.amdhsa_float_denorm_mode_32 3
		.amdhsa_float_denorm_mode_16_64 3
		.amdhsa_fp16_overflow 0
		.amdhsa_memory_ordered 1
		.amdhsa_forward_progress 1
		.amdhsa_inst_pref_size 4
		.amdhsa_round_robin_scheduling 0
		.amdhsa_exception_fp_ieee_invalid_op 0
		.amdhsa_exception_fp_denorm_src 0
		.amdhsa_exception_fp_ieee_div_zero 0
		.amdhsa_exception_fp_ieee_overflow 0
		.amdhsa_exception_fp_ieee_underflow 0
		.amdhsa_exception_fp_ieee_inexact 0
		.amdhsa_exception_int_div_zero 0
	.end_amdhsa_kernel
	.section	.text._ZN9rocsolver6v33100L8set_zeroI19rocblas_complex_numIdEPS3_EEviiT0_iil13rocblas_fill_,"axG",@progbits,_ZN9rocsolver6v33100L8set_zeroI19rocblas_complex_numIdEPS3_EEviiT0_iil13rocblas_fill_,comdat
.Lfunc_end70:
	.size	_ZN9rocsolver6v33100L8set_zeroI19rocblas_complex_numIdEPS3_EEviiT0_iil13rocblas_fill_, .Lfunc_end70-_ZN9rocsolver6v33100L8set_zeroI19rocblas_complex_numIdEPS3_EEviiT0_iil13rocblas_fill_
                                        ; -- End function
	.set _ZN9rocsolver6v33100L8set_zeroI19rocblas_complex_numIdEPS3_EEviiT0_iil13rocblas_fill_.num_vgpr, 6
	.set _ZN9rocsolver6v33100L8set_zeroI19rocblas_complex_numIdEPS3_EEviiT0_iil13rocblas_fill_.num_agpr, 0
	.set _ZN9rocsolver6v33100L8set_zeroI19rocblas_complex_numIdEPS3_EEviiT0_iil13rocblas_fill_.numbered_sgpr, 12
	.set _ZN9rocsolver6v33100L8set_zeroI19rocblas_complex_numIdEPS3_EEviiT0_iil13rocblas_fill_.num_named_barrier, 0
	.set _ZN9rocsolver6v33100L8set_zeroI19rocblas_complex_numIdEPS3_EEviiT0_iil13rocblas_fill_.private_seg_size, 0
	.set _ZN9rocsolver6v33100L8set_zeroI19rocblas_complex_numIdEPS3_EEviiT0_iil13rocblas_fill_.uses_vcc, 1
	.set _ZN9rocsolver6v33100L8set_zeroI19rocblas_complex_numIdEPS3_EEviiT0_iil13rocblas_fill_.uses_flat_scratch, 0
	.set _ZN9rocsolver6v33100L8set_zeroI19rocblas_complex_numIdEPS3_EEviiT0_iil13rocblas_fill_.has_dyn_sized_stack, 0
	.set _ZN9rocsolver6v33100L8set_zeroI19rocblas_complex_numIdEPS3_EEviiT0_iil13rocblas_fill_.has_recursion, 0
	.set _ZN9rocsolver6v33100L8set_zeroI19rocblas_complex_numIdEPS3_EEviiT0_iil13rocblas_fill_.has_indirect_call, 0
	.section	.AMDGPU.csdata,"",@progbits
; Kernel info:
; codeLenInByte = 464
; TotalNumSgprs: 14
; NumVgprs: 6
; ScratchSize: 0
; MemoryBound: 0
; FloatMode: 240
; IeeeMode: 1
; LDSByteSize: 0 bytes/workgroup (compile time only)
; SGPRBlocks: 0
; VGPRBlocks: 0
; NumSGPRsForWavesPerEU: 14
; NumVGPRsForWavesPerEU: 6
; NamedBarCnt: 0
; Occupancy: 16
; WaveLimiterHint : 0
; COMPUTE_PGM_RSRC2:SCRATCH_EN: 0
; COMPUTE_PGM_RSRC2:USER_SGPR: 2
; COMPUTE_PGM_RSRC2:TRAP_HANDLER: 0
; COMPUTE_PGM_RSRC2:TGID_X_EN: 1
; COMPUTE_PGM_RSRC2:TGID_Y_EN: 1
; COMPUTE_PGM_RSRC2:TGID_Z_EN: 1
; COMPUTE_PGM_RSRC2:TIDIG_COMP_CNT: 1
	.section	.text._ZN9rocsolver6v33100L8copy_matI19rocblas_complex_numIdEdLb1EPS3_TnNSt9enable_ifIX18rocblas_is_complexIT_EEiE4typeELi0EEEvNS0_17copymat_directionEiiT2_iilPT0_13rocblas_fill_17rocblas_diagonal_,"axG",@progbits,_ZN9rocsolver6v33100L8copy_matI19rocblas_complex_numIdEdLb1EPS3_TnNSt9enable_ifIX18rocblas_is_complexIT_EEiE4typeELi0EEEvNS0_17copymat_directionEiiT2_iilPT0_13rocblas_fill_17rocblas_diagonal_,comdat
	.globl	_ZN9rocsolver6v33100L8copy_matI19rocblas_complex_numIdEdLb1EPS3_TnNSt9enable_ifIX18rocblas_is_complexIT_EEiE4typeELi0EEEvNS0_17copymat_directionEiiT2_iilPT0_13rocblas_fill_17rocblas_diagonal_ ; -- Begin function _ZN9rocsolver6v33100L8copy_matI19rocblas_complex_numIdEdLb1EPS3_TnNSt9enable_ifIX18rocblas_is_complexIT_EEiE4typeELi0EEEvNS0_17copymat_directionEiiT2_iilPT0_13rocblas_fill_17rocblas_diagonal_
	.p2align	8
	.type	_ZN9rocsolver6v33100L8copy_matI19rocblas_complex_numIdEdLb1EPS3_TnNSt9enable_ifIX18rocblas_is_complexIT_EEiE4typeELi0EEEvNS0_17copymat_directionEiiT2_iilPT0_13rocblas_fill_17rocblas_diagonal_,@function
_ZN9rocsolver6v33100L8copy_matI19rocblas_complex_numIdEdLb1EPS3_TnNSt9enable_ifIX18rocblas_is_complexIT_EEiE4typeELi0EEEvNS0_17copymat_directionEiiT2_iilPT0_13rocblas_fill_17rocblas_diagonal_: ; @_ZN9rocsolver6v33100L8copy_matI19rocblas_complex_numIdEdLb1EPS3_TnNSt9enable_ifIX18rocblas_is_complexIT_EEiE4typeELi0EEEvNS0_17copymat_directionEiiT2_iilPT0_13rocblas_fill_17rocblas_diagonal_
; %bb.0:
	s_clause 0x1
	s_load_b32 s2, s[0:1], 0x44
	s_load_b96 s[12:14], s[0:1], 0x0
	s_bfe_u32 s5, ttmp6, 0x4000c
	s_bfe_u32 s7, ttmp6, 0x40010
	s_and_b32 s6, ttmp7, 0xffff
	s_add_co_i32 s5, s5, 1
	s_add_co_i32 s7, s7, 1
	s_and_b32 s4, ttmp6, 15
	s_bfe_u32 s8, ttmp6, 0x40004
	s_mul_i32 s5, ttmp9, s5
	s_mul_i32 s7, s6, s7
	s_getreg_b32 s3, hwreg(HW_REG_IB_STS2, 6, 4)
	v_bfe_u32 v1, v0, 10, 10
	v_and_b32_e32 v0, 0x3ff, v0
	s_add_co_i32 s4, s4, s5
	s_add_co_i32 s8, s8, s7
	s_wait_kmcnt 0x0
	s_lshr_b32 s5, s2, 16
	s_and_b32 s2, s2, 0xffff
	s_cmp_eq_u32 s3, 0
	s_cselect_b32 s4, ttmp9, s4
	s_cselect_b32 s6, s6, s8
	v_mad_u32 v0, s4, s2, v0
	v_mad_u32 v1, s6, s5, v1
	s_delay_alu instid0(VALU_DEP_2) | instskip(NEXT) | instid1(VALU_DEP_2)
	v_cmp_gt_u32_e32 vcc_lo, s13, v0
	v_cmp_gt_u32_e64 s2, s14, v1
	s_and_b32 s2, s2, vcc_lo
	s_delay_alu instid0(SALU_CYCLE_1)
	s_and_saveexec_b32 s4, s2
	s_cbranch_execz .LBB71_16
; %bb.1:
	s_load_b64 s[4:5], s[0:1], 0x30
	s_wait_kmcnt 0x0
	s_cmp_lt_i32 s4, 0x7a
	s_cbranch_scc1 .LBB71_4
; %bb.2:
	s_cmp_gt_i32 s4, 0x7a
	s_cbranch_scc0 .LBB71_5
; %bb.3:
	s_cmp_lg_u32 s4, 0x7b
	s_mov_b32 s6, -1
	s_cselect_b32 s7, -1, 0
	s_cbranch_execz .LBB71_6
	s_branch .LBB71_7
.LBB71_4:
	s_mov_b32 s7, 0
	s_mov_b32 s6, 0
	s_cbranch_execnz .LBB71_8
	s_branch .LBB71_10
.LBB71_5:
	s_mov_b32 s6, 0
	s_mov_b32 s7, 0
.LBB71_6:
	v_cmp_gt_u32_e32 vcc_lo, v0, v1
	v_cmp_le_u32_e64 s2, v0, v1
	s_and_not1_b32 s6, s6, exec_lo
	s_and_not1_b32 s7, s7, exec_lo
	s_and_b32 s8, vcc_lo, exec_lo
	s_and_b32 s2, s2, exec_lo
	s_or_b32 s6, s6, s8
	s_or_b32 s7, s7, s2
.LBB71_7:
	s_branch .LBB71_10
.LBB71_8:
	s_cmp_eq_u32 s4, 0x79
	s_mov_b32 s7, -1
	s_cbranch_scc0 .LBB71_10
; %bb.9:
	v_cmp_gt_u32_e32 vcc_lo, v1, v0
	v_cmp_le_u32_e64 s2, v1, v0
	s_and_not1_b32 s4, s6, exec_lo
	s_and_b32 s6, vcc_lo, exec_lo
	s_or_not1_b32 s7, s2, exec_lo
	s_or_b32 s6, s4, s6
.LBB71_10:
	s_and_saveexec_b32 s2, s7
; %bb.11:
	v_cmp_eq_u32_e32 vcc_lo, v0, v1
	s_cmp_eq_u32 s5, 0x83
	s_cselect_b32 s4, -1, 0
	s_and_not1_b32 s5, s6, exec_lo
	s_and_b32 s4, s4, vcc_lo
	s_delay_alu instid0(SALU_CYCLE_1) | instskip(NEXT) | instid1(SALU_CYCLE_1)
	s_and_b32 s4, s4, exec_lo
	s_or_b32 s6, s5, s4
; %bb.12:
	s_or_b32 exec_lo, exec_lo, s2
	s_delay_alu instid0(SALU_CYCLE_1)
	s_and_b32 exec_lo, exec_lo, s6
	s_cbranch_execz .LBB71_16
; %bb.13:
	s_load_b256 s[4:11], s[0:1], 0x10
	s_wait_xcnt 0x0
	s_bfe_u32 s0, ttmp6, 0x40014
	s_lshr_b32 s2, ttmp7, 16
	s_add_co_i32 s0, s0, 1
	s_ashr_i32 s17, s13, 31
	s_mov_b32 s16, s13
	s_bfe_u32 s13, ttmp6, 0x40008
	s_mul_i32 s0, s2, s0
	s_ashr_i32 s15, s14, 31
	s_add_co_i32 s13, s13, s0
	v_mad_u32 v2, v1, s16, v0
	s_mov_b32 s1, 0
	s_wait_kmcnt 0x0
	s_ashr_i32 s19, s6, 31
	s_cmp_eq_u32 s3, 0
	v_mad_u32 v0, v1, s7, v0
	s_cselect_b32 s0, s2, s13
	s_mov_b32 s18, s6
	s_mul_u64 s[6:7], s[8:9], s[0:1]
	s_mul_u64 s[8:9], s[16:17], s[0:1]
	s_lshl_b64 s[6:7], s[6:7], 4
	s_mul_u64 s[8:9], s[8:9], s[14:15]
	s_lshl_b64 s[2:3], s[18:19], 4
	s_add_nc_u64 s[4:5], s[4:5], s[6:7]
	s_lshl_b64 s[6:7], s[8:9], 3
	s_cmp_lg_u32 s12, 0
	s_add_nc_u64 s[4:5], s[4:5], s[2:3]
	s_add_nc_u64 s[2:3], s[10:11], s[6:7]
	s_cbranch_scc0 .LBB71_17
; %bb.14:
	global_load_b64 v[4:5], v2, s[2:3] scale_offset
	v_mov_b32_e32 v1, 0
	s_delay_alu instid0(VALU_DEP_1)
	v_lshl_add_u64 v[6:7], v[0:1], 4, s[4:5]
	s_wait_loadcnt 0x0
	global_store_b64 v[6:7], v[4:5], off
	s_and_not1_b32 vcc_lo, exec_lo, s1
	s_cbranch_vccnz .LBB71_16
.LBB71_15:
	v_mov_b32_e32 v1, 0
	s_delay_alu instid0(VALU_DEP_1)
	v_lshl_add_u64 v[0:1], v[0:1], 4, s[4:5]
	global_load_b64 v[0:1], v[0:1], off
	s_wait_loadcnt 0x0
	global_store_b64 v2, v[0:1], s[2:3] scale_offset
.LBB71_16:
	s_endpgm
.LBB71_17:
	s_branch .LBB71_15
	.section	.rodata,"a",@progbits
	.p2align	6, 0x0
	.amdhsa_kernel _ZN9rocsolver6v33100L8copy_matI19rocblas_complex_numIdEdLb1EPS3_TnNSt9enable_ifIX18rocblas_is_complexIT_EEiE4typeELi0EEEvNS0_17copymat_directionEiiT2_iilPT0_13rocblas_fill_17rocblas_diagonal_
		.amdhsa_group_segment_fixed_size 0
		.amdhsa_private_segment_fixed_size 0
		.amdhsa_kernarg_size 312
		.amdhsa_user_sgpr_count 2
		.amdhsa_user_sgpr_dispatch_ptr 0
		.amdhsa_user_sgpr_queue_ptr 0
		.amdhsa_user_sgpr_kernarg_segment_ptr 1
		.amdhsa_user_sgpr_dispatch_id 0
		.amdhsa_user_sgpr_kernarg_preload_length 0
		.amdhsa_user_sgpr_kernarg_preload_offset 0
		.amdhsa_user_sgpr_private_segment_size 0
		.amdhsa_wavefront_size32 1
		.amdhsa_uses_dynamic_stack 0
		.amdhsa_enable_private_segment 0
		.amdhsa_system_sgpr_workgroup_id_x 1
		.amdhsa_system_sgpr_workgroup_id_y 1
		.amdhsa_system_sgpr_workgroup_id_z 1
		.amdhsa_system_sgpr_workgroup_info 0
		.amdhsa_system_vgpr_workitem_id 1
		.amdhsa_next_free_vgpr 8
		.amdhsa_next_free_sgpr 20
		.amdhsa_named_barrier_count 0
		.amdhsa_reserve_vcc 1
		.amdhsa_float_round_mode_32 0
		.amdhsa_float_round_mode_16_64 0
		.amdhsa_float_denorm_mode_32 3
		.amdhsa_float_denorm_mode_16_64 3
		.amdhsa_fp16_overflow 0
		.amdhsa_memory_ordered 1
		.amdhsa_forward_progress 1
		.amdhsa_inst_pref_size 6
		.amdhsa_round_robin_scheduling 0
		.amdhsa_exception_fp_ieee_invalid_op 0
		.amdhsa_exception_fp_denorm_src 0
		.amdhsa_exception_fp_ieee_div_zero 0
		.amdhsa_exception_fp_ieee_overflow 0
		.amdhsa_exception_fp_ieee_underflow 0
		.amdhsa_exception_fp_ieee_inexact 0
		.amdhsa_exception_int_div_zero 0
	.end_amdhsa_kernel
	.section	.text._ZN9rocsolver6v33100L8copy_matI19rocblas_complex_numIdEdLb1EPS3_TnNSt9enable_ifIX18rocblas_is_complexIT_EEiE4typeELi0EEEvNS0_17copymat_directionEiiT2_iilPT0_13rocblas_fill_17rocblas_diagonal_,"axG",@progbits,_ZN9rocsolver6v33100L8copy_matI19rocblas_complex_numIdEdLb1EPS3_TnNSt9enable_ifIX18rocblas_is_complexIT_EEiE4typeELi0EEEvNS0_17copymat_directionEiiT2_iilPT0_13rocblas_fill_17rocblas_diagonal_,comdat
.Lfunc_end71:
	.size	_ZN9rocsolver6v33100L8copy_matI19rocblas_complex_numIdEdLb1EPS3_TnNSt9enable_ifIX18rocblas_is_complexIT_EEiE4typeELi0EEEvNS0_17copymat_directionEiiT2_iilPT0_13rocblas_fill_17rocblas_diagonal_, .Lfunc_end71-_ZN9rocsolver6v33100L8copy_matI19rocblas_complex_numIdEdLb1EPS3_TnNSt9enable_ifIX18rocblas_is_complexIT_EEiE4typeELi0EEEvNS0_17copymat_directionEiiT2_iilPT0_13rocblas_fill_17rocblas_diagonal_
                                        ; -- End function
	.set _ZN9rocsolver6v33100L8copy_matI19rocblas_complex_numIdEdLb1EPS3_TnNSt9enable_ifIX18rocblas_is_complexIT_EEiE4typeELi0EEEvNS0_17copymat_directionEiiT2_iilPT0_13rocblas_fill_17rocblas_diagonal_.num_vgpr, 8
	.set _ZN9rocsolver6v33100L8copy_matI19rocblas_complex_numIdEdLb1EPS3_TnNSt9enable_ifIX18rocblas_is_complexIT_EEiE4typeELi0EEEvNS0_17copymat_directionEiiT2_iilPT0_13rocblas_fill_17rocblas_diagonal_.num_agpr, 0
	.set _ZN9rocsolver6v33100L8copy_matI19rocblas_complex_numIdEdLb1EPS3_TnNSt9enable_ifIX18rocblas_is_complexIT_EEiE4typeELi0EEEvNS0_17copymat_directionEiiT2_iilPT0_13rocblas_fill_17rocblas_diagonal_.numbered_sgpr, 20
	.set _ZN9rocsolver6v33100L8copy_matI19rocblas_complex_numIdEdLb1EPS3_TnNSt9enable_ifIX18rocblas_is_complexIT_EEiE4typeELi0EEEvNS0_17copymat_directionEiiT2_iilPT0_13rocblas_fill_17rocblas_diagonal_.num_named_barrier, 0
	.set _ZN9rocsolver6v33100L8copy_matI19rocblas_complex_numIdEdLb1EPS3_TnNSt9enable_ifIX18rocblas_is_complexIT_EEiE4typeELi0EEEvNS0_17copymat_directionEiiT2_iilPT0_13rocblas_fill_17rocblas_diagonal_.private_seg_size, 0
	.set _ZN9rocsolver6v33100L8copy_matI19rocblas_complex_numIdEdLb1EPS3_TnNSt9enable_ifIX18rocblas_is_complexIT_EEiE4typeELi0EEEvNS0_17copymat_directionEiiT2_iilPT0_13rocblas_fill_17rocblas_diagonal_.uses_vcc, 1
	.set _ZN9rocsolver6v33100L8copy_matI19rocblas_complex_numIdEdLb1EPS3_TnNSt9enable_ifIX18rocblas_is_complexIT_EEiE4typeELi0EEEvNS0_17copymat_directionEiiT2_iilPT0_13rocblas_fill_17rocblas_diagonal_.uses_flat_scratch, 0
	.set _ZN9rocsolver6v33100L8copy_matI19rocblas_complex_numIdEdLb1EPS3_TnNSt9enable_ifIX18rocblas_is_complexIT_EEiE4typeELi0EEEvNS0_17copymat_directionEiiT2_iilPT0_13rocblas_fill_17rocblas_diagonal_.has_dyn_sized_stack, 0
	.set _ZN9rocsolver6v33100L8copy_matI19rocblas_complex_numIdEdLb1EPS3_TnNSt9enable_ifIX18rocblas_is_complexIT_EEiE4typeELi0EEEvNS0_17copymat_directionEiiT2_iilPT0_13rocblas_fill_17rocblas_diagonal_.has_recursion, 0
	.set _ZN9rocsolver6v33100L8copy_matI19rocblas_complex_numIdEdLb1EPS3_TnNSt9enable_ifIX18rocblas_is_complexIT_EEiE4typeELi0EEEvNS0_17copymat_directionEiiT2_iilPT0_13rocblas_fill_17rocblas_diagonal_.has_indirect_call, 0
	.section	.AMDGPU.csdata,"",@progbits
; Kernel info:
; codeLenInByte = 644
; TotalNumSgprs: 22
; NumVgprs: 8
; ScratchSize: 0
; MemoryBound: 0
; FloatMode: 240
; IeeeMode: 1
; LDSByteSize: 0 bytes/workgroup (compile time only)
; SGPRBlocks: 0
; VGPRBlocks: 0
; NumSGPRsForWavesPerEU: 22
; NumVGPRsForWavesPerEU: 8
; NamedBarCnt: 0
; Occupancy: 16
; WaveLimiterHint : 0
; COMPUTE_PGM_RSRC2:SCRATCH_EN: 0
; COMPUTE_PGM_RSRC2:USER_SGPR: 2
; COMPUTE_PGM_RSRC2:TRAP_HANDLER: 0
; COMPUTE_PGM_RSRC2:TGID_X_EN: 1
; COMPUTE_PGM_RSRC2:TGID_Y_EN: 1
; COMPUTE_PGM_RSRC2:TGID_Z_EN: 1
; COMPUTE_PGM_RSRC2:TIDIG_COMP_CNT: 1
	.section	.text._ZN9rocsolver6v33100L11stedc_copyCI19rocblas_complex_numIdEPS3_S4_EEviT0_iilT1_iil,"axG",@progbits,_ZN9rocsolver6v33100L11stedc_copyCI19rocblas_complex_numIdEPS3_S4_EEviT0_iilT1_iil,comdat
	.globl	_ZN9rocsolver6v33100L11stedc_copyCI19rocblas_complex_numIdEPS3_S4_EEviT0_iilT1_iil ; -- Begin function _ZN9rocsolver6v33100L11stedc_copyCI19rocblas_complex_numIdEPS3_S4_EEviT0_iilT1_iil
	.p2align	8
	.type	_ZN9rocsolver6v33100L11stedc_copyCI19rocblas_complex_numIdEPS3_S4_EEviT0_iilT1_iil,@function
_ZN9rocsolver6v33100L11stedc_copyCI19rocblas_complex_numIdEPS3_S4_EEviT0_iilT1_iil: ; @_ZN9rocsolver6v33100L11stedc_copyCI19rocblas_complex_numIdEPS3_S4_EEviT0_iilT1_iil
; %bb.0:
	s_clause 0x1
	s_load_b32 s2, s[0:1], 0x44
	s_load_b32 s22, s[0:1], 0x0
	s_wait_kmcnt 0x0
	s_and_b32 s20, s2, 0xffff
	s_add_co_i32 s4, s22, -1
	s_lshl_b32 s21, s20, 4
	s_abs_i32 s5, s4
	s_cvt_f32_u32 s2, s21
	s_sub_co_i32 s3, 0, s21
	s_ashr_i32 s4, s4, 31
	s_delay_alu instid0(SALU_CYCLE_1) | instskip(SKIP_1) | instid1(TRANS32_DEP_1)
	v_rcp_iflag_f32_e32 v1, s2
	v_nop
	v_readfirstlane_b32 s2, v1
	s_mul_f32 s2, s2, 0x4f7ffffe
	s_delay_alu instid0(SALU_CYCLE_3) | instskip(NEXT) | instid1(SALU_CYCLE_3)
	s_cvt_u32_f32 s2, s2
	s_mul_i32 s3, s3, s2
	s_delay_alu instid0(SALU_CYCLE_1) | instskip(NEXT) | instid1(SALU_CYCLE_1)
	s_mul_hi_u32 s3, s2, s3
	s_add_co_i32 s2, s2, s3
	s_delay_alu instid0(SALU_CYCLE_1) | instskip(NEXT) | instid1(SALU_CYCLE_1)
	s_mul_hi_u32 s2, s5, s2
	s_mul_i32 s3, s2, s21
	s_delay_alu instid0(SALU_CYCLE_1)
	s_sub_co_i32 s3, s5, s3
	s_add_co_i32 s5, s2, 1
	s_sub_co_i32 s6, s3, s21
	s_cmp_ge_u32 s3, s21
	s_cselect_b32 s2, s5, s2
	s_cselect_b32 s3, s6, s3
	s_add_co_i32 s5, s2, 1
	s_cmp_ge_u32 s3, s21
	s_cselect_b32 s2, s5, s2
	s_delay_alu instid0(SALU_CYCLE_1) | instskip(NEXT) | instid1(SALU_CYCLE_1)
	s_xor_b32 s2, s2, s4
	s_sub_co_i32 s2, s2, s4
	s_delay_alu instid0(SALU_CYCLE_1)
	s_cmp_lt_i32 s2, 0
	s_cbranch_scc1 .LBB72_67
; %bb.1:
	s_clause 0x1
	s_load_b256 s[4:11], s[0:1], 0x8
	s_load_b128 s[12:15], s[0:1], 0x28
	s_wait_xcnt 0x0
	s_bfe_u32 s1, ttmp6, 0x4000c
	s_bfe_u32 s3, ttmp6, 0x40010
	s_add_co_i32 s1, s1, 1
	s_add_co_i32 s3, s3, 1
	s_and_b32 s0, ttmp6, 15
	s_bfe_u32 s16, ttmp6, 0x40004
	s_mul_i32 s1, ttmp9, s1
	s_mul_i32 s3, ttmp7, s3
	s_getreg_b32 s17, hwreg(HW_REG_IB_STS2, 6, 4)
	s_add_co_i32 s18, s0, s1
	s_add_co_i32 s3, s16, s3
	s_mov_b32 s24, 48
	s_movk_i32 s26, 0x50
	s_mov_b32 s25, 64
	s_movk_i32 s27, 0x60
	s_movk_i32 s28, 0x70
	s_movk_i32 s29, 0x80
	s_movk_i32 s30, 0x90
	s_wait_kmcnt 0x0
	s_ashr_i32 s1, s6, 31
	s_cmp_eq_u32 s17, 0
	s_mov_b32 s0, s6
	s_cselect_b32 s23, ttmp9, s18
	s_cselect_b32 s18, ttmp7, s3
	s_mov_b32 s16, s12
	s_ashr_i32 s19, s18, 31
	s_ashr_i32 s17, s12, 31
	s_mul_u64 s[8:9], s[8:9], s[18:19]
	s_mul_u64 s[14:15], s[14:15], s[18:19]
	s_mul_i32 s6, s7, s23
	s_mul_i32 s12, s13, s23
	s_lshl_b64 s[8:9], s[8:9], 4
	s_lshl_b64 s[14:15], s[14:15], 4
	;; [unrolled: 1-line block ×4, first 2 shown]
	s_ashr_i32 s7, s6, 31
	s_add_nc_u64 s[4:5], s[4:5], s[8:9]
	s_add_nc_u64 s[8:9], s[10:11], s[14:15]
	s_ashr_i32 s13, s12, 31
	s_add_nc_u64 s[0:1], s[4:5], s[0:1]
	s_add_nc_u64 s[4:5], s[8:9], s[16:17]
	s_lshl_b64 s[6:7], s[6:7], 4
	s_lshl_b64 s[8:9], s[12:13], 4
	s_add_nc_u64 s[16:17], s[0:1], s[6:7]
	s_add_nc_u64 s[18:19], s[4:5], s[8:9]
	s_mov_b32 s15, 16
	s_mov_b32 s23, 32
	s_movk_i32 s31, 0xa0
	s_movk_i32 s33, 0xb0
	;; [unrolled: 1-line block ×6, first 2 shown]
	s_add_co_i32 s38, s2, 1
	s_lshl_b32 s39, s20, 1
	s_mul_i32 s40, s20, 3
	s_lshl_b32 s41, s20, 2
	s_mul_i32 s42, s20, 5
	s_mul_i32 s43, s20, 6
	;; [unrolled: 1-line block ×3, first 2 shown]
	s_lshl_b32 s45, s20, 3
	s_mul_i32 s46, s20, 9
	s_mul_i32 s47, s20, 10
	s_mul_i32 s48, s20, 11
	s_mul_i32 s49, s20, 12
	s_mul_i32 s50, s20, 13
	s_mul_i32 s51, s20, 14
	s_mul_i32 s52, s20, 15
	s_branch .LBB72_3
.LBB72_2:                               ;   in Loop: Header=BB72_3 Depth=1
	s_wait_xcnt 0x0
	s_or_b32 exec_lo, exec_lo, s0
	v_add_nc_u32_e32 v0, s21, v0
	s_add_co_i32 s38, s38, -1
	s_delay_alu instid0(SALU_CYCLE_1)
	s_cmp_eq_u32 s38, 0
	s_cbranch_scc1 .LBB72_67
.LBB72_3:                               ; =>This Inner Loop Header: Depth=1
	s_delay_alu instid0(VALU_DEP_1)
	v_cmp_gt_i32_e32 vcc_lo, s22, v0
	s_and_saveexec_b32 s0, vcc_lo
	s_cbranch_execz .LBB72_5
; %bb.4:                                ;   in Loop: Header=BB72_3 Depth=1
	global_load_b128 v[2:5], v0, s[16:17] scale_offset
	s_wait_loadcnt 0x0
	scratch_store_b128 off, v[2:5], off
.LBB72_5:                               ;   in Loop: Header=BB72_3 Depth=1
	s_wait_xcnt 0x0
	s_or_b32 exec_lo, exec_lo, s0
	v_add_nc_u32_e32 v1, s20, v0
	s_delay_alu instid0(VALU_DEP_1)
	v_cmp_gt_i32_e64 s0, s22, v1
	s_and_saveexec_b32 s1, s0
	s_cbranch_execz .LBB72_7
; %bb.6:                                ;   in Loop: Header=BB72_3 Depth=1
	global_load_b128 v[2:5], v1, s[16:17] scale_offset
	s_wait_loadcnt 0x0
	scratch_store_b128 off, v[2:5], s15
.LBB72_7:                               ;   in Loop: Header=BB72_3 Depth=1
	s_wait_xcnt 0x0
	s_or_b32 exec_lo, exec_lo, s1
	v_dual_add_nc_u32 v3, s20, v1 :: v_dual_add_nc_u32 v2, s39, v0
	s_delay_alu instid0(VALU_DEP_1)
	v_cmp_gt_i32_e64 s1, s22, v3
	s_and_saveexec_b32 s2, s1
	s_cbranch_execz .LBB72_9
; %bb.8:                                ;   in Loop: Header=BB72_3 Depth=1
	global_load_b128 v[4:7], v2, s[16:17] scale_offset
	s_wait_loadcnt 0x0
	scratch_store_b128 off, v[4:7], s23
.LBB72_9:                               ;   in Loop: Header=BB72_3 Depth=1
	s_wait_xcnt 0x0
	s_or_b32 exec_lo, exec_lo, s2
	v_dual_add_nc_u32 v4, s20, v3 :: v_dual_add_nc_u32 v3, s40, v0
	s_delay_alu instid0(VALU_DEP_1)
	v_cmp_gt_i32_e64 s2, s22, v4
	s_and_saveexec_b32 s3, s2
	s_cbranch_execz .LBB72_11
; %bb.10:                               ;   in Loop: Header=BB72_3 Depth=1
	global_load_b128 v[6:9], v3, s[16:17] scale_offset
	s_wait_loadcnt 0x0
	scratch_store_b128 off, v[6:9], s24
.LBB72_11:                              ;   in Loop: Header=BB72_3 Depth=1
	s_wait_xcnt 0x0
	s_or_b32 exec_lo, exec_lo, s3
	v_add_nc_u32_e32 v5, s20, v4
	v_add_nc_u32_e32 v4, s41, v0
	s_delay_alu instid0(VALU_DEP_2)
	v_cmp_gt_i32_e64 s3, s22, v5
	s_and_saveexec_b32 s4, s3
	s_cbranch_execz .LBB72_13
; %bb.12:                               ;   in Loop: Header=BB72_3 Depth=1
	global_load_b128 v[6:9], v4, s[16:17] scale_offset
	s_wait_loadcnt 0x0
	scratch_store_b128 off, v[6:9], s25
.LBB72_13:                              ;   in Loop: Header=BB72_3 Depth=1
	s_wait_xcnt 0x0
	s_or_b32 exec_lo, exec_lo, s4
	v_dual_add_nc_u32 v6, s20, v5 :: v_dual_add_nc_u32 v5, s42, v0
	s_delay_alu instid0(VALU_DEP_1)
	v_cmp_gt_i32_e64 s4, s22, v6
	s_and_saveexec_b32 s5, s4
	s_cbranch_execz .LBB72_15
; %bb.14:                               ;   in Loop: Header=BB72_3 Depth=1
	global_load_b128 v[8:11], v5, s[16:17] scale_offset
	s_wait_loadcnt 0x0
	scratch_store_b128 off, v[8:11], s26
.LBB72_15:                              ;   in Loop: Header=BB72_3 Depth=1
	s_wait_xcnt 0x0
	s_or_b32 exec_lo, exec_lo, s5
	v_dual_add_nc_u32 v7, s20, v6 :: v_dual_add_nc_u32 v6, s43, v0
	s_delay_alu instid0(VALU_DEP_1)
	v_cmp_gt_i32_e64 s5, s22, v7
	s_and_saveexec_b32 s6, s5
	s_cbranch_execz .LBB72_17
; %bb.16:                               ;   in Loop: Header=BB72_3 Depth=1
	global_load_b128 v[8:11], v6, s[16:17] scale_offset
	s_wait_loadcnt 0x0
	scratch_store_b128 off, v[8:11], s27
.LBB72_17:                              ;   in Loop: Header=BB72_3 Depth=1
	s_wait_xcnt 0x0
	s_or_b32 exec_lo, exec_lo, s6
	v_dual_add_nc_u32 v8, s20, v7 :: v_dual_add_nc_u32 v7, s44, v0
	s_delay_alu instid0(VALU_DEP_1)
	v_cmp_gt_i32_e64 s6, s22, v8
	s_and_saveexec_b32 s7, s6
	s_cbranch_execz .LBB72_19
; %bb.18:                               ;   in Loop: Header=BB72_3 Depth=1
	global_load_b128 v[10:13], v7, s[16:17] scale_offset
	s_wait_loadcnt 0x0
	scratch_store_b128 off, v[10:13], s28
.LBB72_19:                              ;   in Loop: Header=BB72_3 Depth=1
	s_wait_xcnt 0x0
	s_or_b32 exec_lo, exec_lo, s7
	v_add_nc_u32_e32 v9, s20, v8
	v_add_nc_u32_e32 v8, s45, v0
	s_delay_alu instid0(VALU_DEP_2)
	v_cmp_gt_i32_e64 s7, s22, v9
	s_and_saveexec_b32 s8, s7
	s_cbranch_execz .LBB72_21
; %bb.20:                               ;   in Loop: Header=BB72_3 Depth=1
	global_load_b128 v[10:13], v8, s[16:17] scale_offset
	s_wait_loadcnt 0x0
	scratch_store_b128 off, v[10:13], s29
.LBB72_21:                              ;   in Loop: Header=BB72_3 Depth=1
	s_wait_xcnt 0x0
	s_or_b32 exec_lo, exec_lo, s8
	v_dual_add_nc_u32 v10, s20, v9 :: v_dual_add_nc_u32 v9, s46, v0
	s_delay_alu instid0(VALU_DEP_1)
	v_cmp_gt_i32_e64 s8, s22, v10
	s_and_saveexec_b32 s9, s8
	s_cbranch_execz .LBB72_23
; %bb.22:                               ;   in Loop: Header=BB72_3 Depth=1
	global_load_b128 v[12:15], v9, s[16:17] scale_offset
	s_wait_loadcnt 0x0
	scratch_store_b128 off, v[12:15], s30
.LBB72_23:                              ;   in Loop: Header=BB72_3 Depth=1
	s_wait_xcnt 0x0
	s_or_b32 exec_lo, exec_lo, s9
	v_dual_add_nc_u32 v11, s20, v10 :: v_dual_add_nc_u32 v10, s47, v0
	s_delay_alu instid0(VALU_DEP_1)
	v_cmp_gt_i32_e64 s9, s22, v11
	s_and_saveexec_b32 s10, s9
	s_cbranch_execz .LBB72_25
; %bb.24:                               ;   in Loop: Header=BB72_3 Depth=1
	global_load_b128 v[12:15], v10, s[16:17] scale_offset
	s_wait_loadcnt 0x0
	scratch_store_b128 off, v[12:15], s31
.LBB72_25:                              ;   in Loop: Header=BB72_3 Depth=1
	;; [unrolled: 49-line block ×3, first 2 shown]
	s_wait_xcnt 0x0
	s_or_b32 exec_lo, exec_lo, s14
	v_dual_add_nc_u32 v16, s20, v15 :: v_dual_add_nc_u32 v15, s52, v0
	s_delay_alu instid0(VALU_DEP_1)
	v_cmp_gt_i32_e64 s14, s22, v16
	s_and_saveexec_b32 s53, s14
	s_cbranch_execnz .LBB72_50
; %bb.34:                               ;   in Loop: Header=BB72_3 Depth=1
	s_or_b32 exec_lo, exec_lo, s53
	s_and_saveexec_b32 s53, vcc_lo
	s_cbranch_execnz .LBB72_51
.LBB72_35:                              ;   in Loop: Header=BB72_3 Depth=1
	s_or_b32 exec_lo, exec_lo, s53
	s_and_saveexec_b32 s53, s0
	s_cbranch_execnz .LBB72_52
.LBB72_36:                              ;   in Loop: Header=BB72_3 Depth=1
	s_or_b32 exec_lo, exec_lo, s53
	s_and_saveexec_b32 s0, s1
	s_cbranch_execnz .LBB72_53
.LBB72_37:                              ;   in Loop: Header=BB72_3 Depth=1
	s_or_b32 exec_lo, exec_lo, s0
	s_and_saveexec_b32 s0, s2
	s_cbranch_execnz .LBB72_54
.LBB72_38:                              ;   in Loop: Header=BB72_3 Depth=1
	s_or_b32 exec_lo, exec_lo, s0
	s_and_saveexec_b32 s0, s3
	s_cbranch_execnz .LBB72_55
.LBB72_39:                              ;   in Loop: Header=BB72_3 Depth=1
	s_or_b32 exec_lo, exec_lo, s0
	s_and_saveexec_b32 s0, s4
	s_cbranch_execnz .LBB72_56
.LBB72_40:                              ;   in Loop: Header=BB72_3 Depth=1
	s_or_b32 exec_lo, exec_lo, s0
	s_and_saveexec_b32 s0, s5
	s_cbranch_execnz .LBB72_57
.LBB72_41:                              ;   in Loop: Header=BB72_3 Depth=1
	s_or_b32 exec_lo, exec_lo, s0
	s_and_saveexec_b32 s0, s6
	s_cbranch_execnz .LBB72_58
.LBB72_42:                              ;   in Loop: Header=BB72_3 Depth=1
	s_or_b32 exec_lo, exec_lo, s0
	s_and_saveexec_b32 s0, s7
	s_cbranch_execnz .LBB72_59
.LBB72_43:                              ;   in Loop: Header=BB72_3 Depth=1
	s_or_b32 exec_lo, exec_lo, s0
	s_and_saveexec_b32 s0, s8
	s_cbranch_execnz .LBB72_60
.LBB72_44:                              ;   in Loop: Header=BB72_3 Depth=1
	s_or_b32 exec_lo, exec_lo, s0
	s_and_saveexec_b32 s0, s9
	s_cbranch_execnz .LBB72_61
.LBB72_45:                              ;   in Loop: Header=BB72_3 Depth=1
	s_or_b32 exec_lo, exec_lo, s0
	s_and_saveexec_b32 s0, s10
	s_cbranch_execnz .LBB72_62
.LBB72_46:                              ;   in Loop: Header=BB72_3 Depth=1
	s_or_b32 exec_lo, exec_lo, s0
	s_and_saveexec_b32 s0, s11
	s_cbranch_execnz .LBB72_63
.LBB72_47:                              ;   in Loop: Header=BB72_3 Depth=1
	s_or_b32 exec_lo, exec_lo, s0
	s_and_saveexec_b32 s0, s12
	s_cbranch_execnz .LBB72_64
.LBB72_48:                              ;   in Loop: Header=BB72_3 Depth=1
	s_or_b32 exec_lo, exec_lo, s0
	s_and_saveexec_b32 s0, s13
	s_cbranch_execnz .LBB72_65
.LBB72_49:                              ;   in Loop: Header=BB72_3 Depth=1
	s_or_b32 exec_lo, exec_lo, s0
	s_and_saveexec_b32 s0, s14
	s_cbranch_execz .LBB72_2
	s_branch .LBB72_66
.LBB72_50:                              ;   in Loop: Header=BB72_3 Depth=1
	global_load_b128 v[16:19], v15, s[16:17] scale_offset
	s_wait_loadcnt 0x0
	scratch_store_b128 off, v[16:19], s37
	s_wait_xcnt 0x0
	s_or_b32 exec_lo, exec_lo, s53
	s_and_saveexec_b32 s53, vcc_lo
	s_cbranch_execz .LBB72_35
.LBB72_51:                              ;   in Loop: Header=BB72_3 Depth=1
	scratch_load_b128 v[16:19], off, off
	s_wait_loadcnt 0x0
	global_store_b128 v0, v[16:19], s[18:19] scale_offset
	s_wait_xcnt 0x0
	s_or_b32 exec_lo, exec_lo, s53
	s_and_saveexec_b32 s53, s0
	s_cbranch_execz .LBB72_36
.LBB72_52:                              ;   in Loop: Header=BB72_3 Depth=1
	scratch_load_b128 v[16:19], off, s15
	s_wait_loadcnt 0x0
	global_store_b128 v1, v[16:19], s[18:19] scale_offset
	s_wait_xcnt 0x0
	s_or_b32 exec_lo, exec_lo, s53
	s_and_saveexec_b32 s0, s1
	s_cbranch_execz .LBB72_37
.LBB72_53:                              ;   in Loop: Header=BB72_3 Depth=1
	scratch_load_b128 v[16:19], off, s23
	s_wait_loadcnt 0x0
	global_store_b128 v2, v[16:19], s[18:19] scale_offset
	s_wait_xcnt 0x0
	s_or_b32 exec_lo, exec_lo, s0
	s_and_saveexec_b32 s0, s2
	s_cbranch_execz .LBB72_38
.LBB72_54:                              ;   in Loop: Header=BB72_3 Depth=1
	scratch_load_b128 v[16:19], off, s24
	s_wait_loadcnt 0x0
	global_store_b128 v3, v[16:19], s[18:19] scale_offset
	s_wait_xcnt 0x0
	s_or_b32 exec_lo, exec_lo, s0
	s_and_saveexec_b32 s0, s3
	s_cbranch_execz .LBB72_39
.LBB72_55:                              ;   in Loop: Header=BB72_3 Depth=1
	scratch_load_b128 v[16:19], off, s25
	s_wait_loadcnt 0x0
	global_store_b128 v4, v[16:19], s[18:19] scale_offset
	s_wait_xcnt 0x0
	s_or_b32 exec_lo, exec_lo, s0
	s_and_saveexec_b32 s0, s4
	s_cbranch_execz .LBB72_40
.LBB72_56:                              ;   in Loop: Header=BB72_3 Depth=1
	scratch_load_b128 v[16:19], off, s26
	s_wait_loadcnt 0x0
	global_store_b128 v5, v[16:19], s[18:19] scale_offset
	s_wait_xcnt 0x0
	s_or_b32 exec_lo, exec_lo, s0
	s_and_saveexec_b32 s0, s5
	s_cbranch_execz .LBB72_41
.LBB72_57:                              ;   in Loop: Header=BB72_3 Depth=1
	scratch_load_b128 v[2:5], off, s27
	s_wait_loadcnt 0x0
	global_store_b128 v6, v[2:5], s[18:19] scale_offset
	s_wait_xcnt 0x0
	s_or_b32 exec_lo, exec_lo, s0
	s_and_saveexec_b32 s0, s6
	s_cbranch_execz .LBB72_42
.LBB72_58:                              ;   in Loop: Header=BB72_3 Depth=1
	scratch_load_b128 v[2:5], off, s28
	s_wait_loadcnt 0x0
	global_store_b128 v7, v[2:5], s[18:19] scale_offset
	s_wait_xcnt 0x0
	s_or_b32 exec_lo, exec_lo, s0
	s_and_saveexec_b32 s0, s7
	s_cbranch_execz .LBB72_43
.LBB72_59:                              ;   in Loop: Header=BB72_3 Depth=1
	scratch_load_b128 v[2:5], off, s29
	s_wait_loadcnt 0x0
	global_store_b128 v8, v[2:5], s[18:19] scale_offset
	s_wait_xcnt 0x0
	s_or_b32 exec_lo, exec_lo, s0
	s_and_saveexec_b32 s0, s8
	s_cbranch_execz .LBB72_44
.LBB72_60:                              ;   in Loop: Header=BB72_3 Depth=1
	scratch_load_b128 v[2:5], off, s30
	s_wait_loadcnt 0x0
	global_store_b128 v9, v[2:5], s[18:19] scale_offset
	s_wait_xcnt 0x0
	s_or_b32 exec_lo, exec_lo, s0
	s_and_saveexec_b32 s0, s9
	s_cbranch_execz .LBB72_45
.LBB72_61:                              ;   in Loop: Header=BB72_3 Depth=1
	scratch_load_b128 v[2:5], off, s31
	s_wait_loadcnt 0x0
	global_store_b128 v10, v[2:5], s[18:19] scale_offset
	s_wait_xcnt 0x0
	s_or_b32 exec_lo, exec_lo, s0
	s_and_saveexec_b32 s0, s10
	s_cbranch_execz .LBB72_46
.LBB72_62:                              ;   in Loop: Header=BB72_3 Depth=1
	scratch_load_b128 v[2:5], off, s33
	s_wait_loadcnt 0x0
	global_store_b128 v11, v[2:5], s[18:19] scale_offset
	s_wait_xcnt 0x0
	s_or_b32 exec_lo, exec_lo, s0
	s_and_saveexec_b32 s0, s11
	s_cbranch_execz .LBB72_47
.LBB72_63:                              ;   in Loop: Header=BB72_3 Depth=1
	scratch_load_b128 v[2:5], off, s34
	s_wait_loadcnt 0x0
	global_store_b128 v12, v[2:5], s[18:19] scale_offset
	s_wait_xcnt 0x0
	s_or_b32 exec_lo, exec_lo, s0
	s_and_saveexec_b32 s0, s12
	s_cbranch_execz .LBB72_48
.LBB72_64:                              ;   in Loop: Header=BB72_3 Depth=1
	scratch_load_b128 v[2:5], off, s35
	s_wait_loadcnt 0x0
	global_store_b128 v13, v[2:5], s[18:19] scale_offset
	s_wait_xcnt 0x0
	s_or_b32 exec_lo, exec_lo, s0
	s_and_saveexec_b32 s0, s13
	s_cbranch_execz .LBB72_49
.LBB72_65:                              ;   in Loop: Header=BB72_3 Depth=1
	scratch_load_b128 v[2:5], off, s36
	s_wait_loadcnt 0x0
	global_store_b128 v14, v[2:5], s[18:19] scale_offset
	s_wait_xcnt 0x0
	s_or_b32 exec_lo, exec_lo, s0
	s_and_saveexec_b32 s0, s14
	s_cbranch_execz .LBB72_2
.LBB72_66:                              ;   in Loop: Header=BB72_3 Depth=1
	scratch_load_b128 v[2:5], off, s37
	s_wait_loadcnt 0x0
	global_store_b128 v15, v[2:5], s[18:19] scale_offset
	s_branch .LBB72_2
.LBB72_67:
	s_endpgm
	.section	.rodata,"a",@progbits
	.p2align	6, 0x0
	.amdhsa_kernel _ZN9rocsolver6v33100L11stedc_copyCI19rocblas_complex_numIdEPS3_S4_EEviT0_iilT1_iil
		.amdhsa_group_segment_fixed_size 0
		.amdhsa_private_segment_fixed_size 272
		.amdhsa_kernarg_size 312
		.amdhsa_user_sgpr_count 2
		.amdhsa_user_sgpr_dispatch_ptr 0
		.amdhsa_user_sgpr_queue_ptr 0
		.amdhsa_user_sgpr_kernarg_segment_ptr 1
		.amdhsa_user_sgpr_dispatch_id 0
		.amdhsa_user_sgpr_kernarg_preload_length 0
		.amdhsa_user_sgpr_kernarg_preload_offset 0
		.amdhsa_user_sgpr_private_segment_size 0
		.amdhsa_wavefront_size32 1
		.amdhsa_uses_dynamic_stack 0
		.amdhsa_enable_private_segment 1
		.amdhsa_system_sgpr_workgroup_id_x 1
		.amdhsa_system_sgpr_workgroup_id_y 1
		.amdhsa_system_sgpr_workgroup_id_z 0
		.amdhsa_system_sgpr_workgroup_info 0
		.amdhsa_system_vgpr_workitem_id 0
		.amdhsa_next_free_vgpr 20
		.amdhsa_next_free_sgpr 54
		.amdhsa_named_barrier_count 0
		.amdhsa_reserve_vcc 1
		.amdhsa_float_round_mode_32 0
		.amdhsa_float_round_mode_16_64 0
		.amdhsa_float_denorm_mode_32 3
		.amdhsa_float_denorm_mode_16_64 3
		.amdhsa_fp16_overflow 0
		.amdhsa_memory_ordered 1
		.amdhsa_forward_progress 1
		.amdhsa_inst_pref_size 20
		.amdhsa_round_robin_scheduling 0
		.amdhsa_exception_fp_ieee_invalid_op 0
		.amdhsa_exception_fp_denorm_src 0
		.amdhsa_exception_fp_ieee_div_zero 0
		.amdhsa_exception_fp_ieee_overflow 0
		.amdhsa_exception_fp_ieee_underflow 0
		.amdhsa_exception_fp_ieee_inexact 0
		.amdhsa_exception_int_div_zero 0
	.end_amdhsa_kernel
	.section	.text._ZN9rocsolver6v33100L11stedc_copyCI19rocblas_complex_numIdEPS3_S4_EEviT0_iilT1_iil,"axG",@progbits,_ZN9rocsolver6v33100L11stedc_copyCI19rocblas_complex_numIdEPS3_S4_EEviT0_iilT1_iil,comdat
.Lfunc_end72:
	.size	_ZN9rocsolver6v33100L11stedc_copyCI19rocblas_complex_numIdEPS3_S4_EEviT0_iilT1_iil, .Lfunc_end72-_ZN9rocsolver6v33100L11stedc_copyCI19rocblas_complex_numIdEPS3_S4_EEviT0_iilT1_iil
                                        ; -- End function
	.set _ZN9rocsolver6v33100L11stedc_copyCI19rocblas_complex_numIdEPS3_S4_EEviT0_iilT1_iil.num_vgpr, 20
	.set _ZN9rocsolver6v33100L11stedc_copyCI19rocblas_complex_numIdEPS3_S4_EEviT0_iilT1_iil.num_agpr, 0
	.set _ZN9rocsolver6v33100L11stedc_copyCI19rocblas_complex_numIdEPS3_S4_EEviT0_iilT1_iil.numbered_sgpr, 54
	.set _ZN9rocsolver6v33100L11stedc_copyCI19rocblas_complex_numIdEPS3_S4_EEviT0_iilT1_iil.num_named_barrier, 0
	.set _ZN9rocsolver6v33100L11stedc_copyCI19rocblas_complex_numIdEPS3_S4_EEviT0_iilT1_iil.private_seg_size, 272
	.set _ZN9rocsolver6v33100L11stedc_copyCI19rocblas_complex_numIdEPS3_S4_EEviT0_iilT1_iil.uses_vcc, 1
	.set _ZN9rocsolver6v33100L11stedc_copyCI19rocblas_complex_numIdEPS3_S4_EEviT0_iilT1_iil.uses_flat_scratch, 0
	.set _ZN9rocsolver6v33100L11stedc_copyCI19rocblas_complex_numIdEPS3_S4_EEviT0_iilT1_iil.has_dyn_sized_stack, 0
	.set _ZN9rocsolver6v33100L11stedc_copyCI19rocblas_complex_numIdEPS3_S4_EEviT0_iilT1_iil.has_recursion, 0
	.set _ZN9rocsolver6v33100L11stedc_copyCI19rocblas_complex_numIdEPS3_S4_EEviT0_iilT1_iil.has_indirect_call, 0
	.section	.AMDGPU.csdata,"",@progbits
; Kernel info:
; codeLenInByte = 2472
; TotalNumSgprs: 56
; NumVgprs: 20
; ScratchSize: 272
; MemoryBound: 0
; FloatMode: 240
; IeeeMode: 1
; LDSByteSize: 0 bytes/workgroup (compile time only)
; SGPRBlocks: 0
; VGPRBlocks: 1
; NumSGPRsForWavesPerEU: 56
; NumVGPRsForWavesPerEU: 20
; NamedBarCnt: 0
; Occupancy: 16
; WaveLimiterHint : 0
; COMPUTE_PGM_RSRC2:SCRATCH_EN: 1
; COMPUTE_PGM_RSRC2:USER_SGPR: 2
; COMPUTE_PGM_RSRC2:TRAP_HANDLER: 0
; COMPUTE_PGM_RSRC2:TGID_X_EN: 1
; COMPUTE_PGM_RSRC2:TGID_Y_EN: 1
; COMPUTE_PGM_RSRC2:TGID_Z_EN: 0
; COMPUTE_PGM_RSRC2:TIDIG_COMP_CNT: 0
	.section	.text._ZN9rocsolver6v33100L10stedc_sortI19rocblas_complex_numIdEdPS3_S4_EEviPT0_lS6_lT1_iilT2_iil,"axG",@progbits,_ZN9rocsolver6v33100L10stedc_sortI19rocblas_complex_numIdEdPS3_S4_EEviPT0_lS6_lT1_iilT2_iil,comdat
	.globl	_ZN9rocsolver6v33100L10stedc_sortI19rocblas_complex_numIdEdPS3_S4_EEviPT0_lS6_lT1_iilT2_iil ; -- Begin function _ZN9rocsolver6v33100L10stedc_sortI19rocblas_complex_numIdEdPS3_S4_EEviPT0_lS6_lT1_iilT2_iil
	.p2align	8
	.type	_ZN9rocsolver6v33100L10stedc_sortI19rocblas_complex_numIdEdPS3_S4_EEviPT0_lS6_lT1_iilT2_iil,@function
_ZN9rocsolver6v33100L10stedc_sortI19rocblas_complex_numIdEdPS3_S4_EEviPT0_lS6_lT1_iilT2_iil: ; @_ZN9rocsolver6v33100L10stedc_sortI19rocblas_complex_numIdEdPS3_S4_EEviPT0_lS6_lT1_iilT2_iil
; %bb.0:
	s_clause 0x1
	s_load_b32 s4, s[2:3], 0x64
	s_load_b64 s[34:35], s[2:3], 0x28
	s_bfe_u32 s6, ttmp6, 0x4000c
	s_bfe_u32 s7, ttmp6, 0x40010
	s_add_co_i32 s6, s6, 1
	s_add_co_i32 s7, s7, 1
	s_and_b32 s5, ttmp6, 15
	s_bfe_u32 s8, ttmp6, 0x40004
	s_mul_i32 s6, ttmp9, s6
	s_mul_i32 s7, ttmp7, s7
	s_getreg_b32 s9, hwreg(HW_REG_IB_STS2, 6, 4)
	s_add_co_i32 s5, s5, s6
	s_add_co_i32 s8, s8, s7
	s_cmp_eq_u32 s9, 0
	s_load_b256 s[20:27], s[2:3], 0x8
	s_cselect_b32 s28, ttmp9, s5
	s_cselect_b32 s30, ttmp7, s8
	s_load_b32 s40, s[2:3], 0x0
	s_ashr_i32 s31, s30, 31
	s_ashr_i32 s29, s28, 31
	s_wait_kmcnt 0x0
	s_and_b32 s33, s4, 0xffff
	s_lshl_b64 s[36:37], s[28:29], 3
	s_lshl_b32 s41, s33, 4
	v_and_b32_e32 v34, 0x3ff, v0
	s_cvt_f32_u32 s4, s41
	s_sub_co_i32 s10, 0, s41
	s_mul_i32 s29, s33, 3
	s_mul_i32 s42, s33, 5
	v_rcp_iflag_f32_e32 v1, s4
	s_mov_b32 s4, -1
	s_mul_i32 s43, s33, 6
	s_mul_i32 s44, s33, 9
	s_mul_i32 s45, s33, 10
	s_mul_i32 s46, s33, 11
	s_mul_u64 s[6:7], s[22:23], s[30:31]
	v_nop
	v_readfirstlane_b32 s5, v1
	s_lshl_b64 s[6:7], s[6:7], 3
	s_add_co_i32 s8, s40, -1
	s_add_nc_u64 s[38:39], s[20:21], s[6:7]
	s_ashr_i32 s9, s8, 31
	s_mul_f32 s5, s5, 0x4f7ffffe
	s_abs_i32 s8, s8
	s_add_nc_u64 s[6:7], s[38:39], s[36:37]
	s_mul_i32 s21, s33, 7
	s_cvt_u32_f32 s5, s5
	s_load_b64 s[22:23], s[6:7], 0x0
	s_mul_i32 s47, s33, 12
	s_mul_i32 s48, s33, 13
	;; [unrolled: 1-line block ×4, first 2 shown]
	s_mul_hi_u32 s10, s5, s10
	s_mul_i32 s50, s33, 15
	s_add_co_i32 s5, s5, s10
	s_delay_alu instid0(SALU_CYCLE_1) | instskip(NEXT) | instid1(SALU_CYCLE_1)
	s_mul_hi_u32 s5, s8, s5
	s_mul_i32 s10, s5, s41
	s_wait_xcnt 0x0
	s_add_co_i32 s7, s5, 1
	s_sub_co_i32 s6, s8, s10
	s_delay_alu instid0(SALU_CYCLE_1)
	s_sub_co_i32 s8, s6, s41
	s_cmp_ge_u32 s6, s41
	s_cselect_b32 s5, s7, s5
	s_cselect_b32 s6, s8, s6
	s_add_co_i32 s7, s5, 1
	s_cmp_ge_u32 s6, s41
	s_cselect_b32 s5, s7, s5
	s_delay_alu instid0(SALU_CYCLE_1) | instskip(NEXT) | instid1(SALU_CYCLE_1)
	s_xor_b32 s5, s5, s9
	s_sub_co_i32 s51, s5, s9
	s_delay_alu instid0(SALU_CYCLE_1)
	s_cmp_gt_i32 s51, -1
	s_cselect_b32 s52, -1, 0
	s_cmp_lt_i32 s51, 0
	s_cbranch_scc1 .LBB73_67
; %bb.1:
	v_dual_mov_b32 v1, 0 :: v_dual_mov_b32 v35, v34
	v_dual_mov_b32 v36, 0 :: v_dual_mov_b32 v37, 0
	s_add_co_i32 s53, s51, 1
	s_lshl_b32 s54, s33, 1
	s_lshl_b32 s55, s33, 2
	;; [unrolled: 1-line block ×3, first 2 shown]
                                        ; implicit-def: $vgpr32_vgpr33
                                        ; implicit-def: $vgpr28_vgpr29
                                        ; implicit-def: $vgpr24_vgpr25
                                        ; implicit-def: $vgpr20_vgpr21
                                        ; implicit-def: $vgpr16_vgpr17
                                        ; implicit-def: $vgpr12_vgpr13
                                        ; implicit-def: $vgpr8_vgpr9
                                        ; implicit-def: $vgpr4_vgpr5
	s_branch .LBB73_3
.LBB73_2:                               ;   in Loop: Header=BB73_3 Depth=1
	s_or_b32 exec_lo, exec_lo, s6
	v_add_nc_u32_e32 v35, s41, v35
	s_add_co_i32 s53, s53, -1
	s_delay_alu instid0(SALU_CYCLE_1)
	s_cmp_eq_u32 s53, 0
	s_cbranch_scc1 .LBB73_68
.LBB73_3:                               ; =>This Inner Loop Header: Depth=1
	s_delay_alu instid0(VALU_DEP_1)
	v_cmp_gt_i32_e64 s18, s40, v35
	s_and_saveexec_b32 s4, s18
	s_cbranch_execz .LBB73_5
; %bb.4:                                ;   in Loop: Header=BB73_3 Depth=1
	s_wait_loadcnt 0x0
	global_load_b64 v[2:3], v35, s[38:39] scale_offset
.LBB73_5:                               ;   in Loop: Header=BB73_3 Depth=1
	s_wait_xcnt 0x0
	s_or_b32 exec_lo, exec_lo, s4
	v_add_nc_u32_e32 v52, s33, v35
	s_delay_alu instid0(VALU_DEP_1)
	v_cmp_gt_i32_e64 s17, s40, v52
	s_and_saveexec_b32 s4, s17
	s_cbranch_execz .LBB73_7
; %bb.6:                                ;   in Loop: Header=BB73_3 Depth=1
	s_wait_loadcnt 0x0
	global_load_b64 v[4:5], v52, s[38:39] scale_offset
.LBB73_7:                               ;   in Loop: Header=BB73_3 Depth=1
	s_wait_xcnt 0x0
	s_or_b32 exec_lo, exec_lo, s4
	v_add_nc_u32_e32 v51, s54, v35
	;; [unrolled: 11-line block ×3, first 2 shown]
	s_delay_alu instid0(VALU_DEP_1)
	v_cmp_gt_i32_e64 s15, s40, v50
	s_and_saveexec_b32 s4, s15
	s_cbranch_execz .LBB73_11
; %bb.10:                               ;   in Loop: Header=BB73_3 Depth=1
	s_wait_loadcnt 0x0
	global_load_b64 v[8:9], v50, s[38:39] scale_offset
.LBB73_11:                              ;   in Loop: Header=BB73_3 Depth=1
	s_wait_xcnt 0x0
	s_or_b32 exec_lo, exec_lo, s4
	v_add_nc_u32_e32 v49, s55, v35
	s_delay_alu instid0(VALU_DEP_1)
	v_cmp_gt_i32_e64 s14, s40, v49
	s_and_saveexec_b32 s4, s14
	s_cbranch_execz .LBB73_13
; %bb.12:                               ;   in Loop: Header=BB73_3 Depth=1
	s_wait_loadcnt 0x0
	global_load_b64 v[10:11], v49, s[38:39] scale_offset
.LBB73_13:                              ;   in Loop: Header=BB73_3 Depth=1
	s_wait_xcnt 0x0
	s_or_b32 exec_lo, exec_lo, s4
	v_add_nc_u32_e32 v48, s42, v35
	;; [unrolled: 11-line block ×12, first 2 shown]
	s_delay_alu instid0(VALU_DEP_1)
	v_cmp_gt_i32_e32 vcc_lo, s40, v38
	s_and_saveexec_b32 s19, vcc_lo
	s_cbranch_execnz .LBB73_50
; %bb.34:                               ;   in Loop: Header=BB73_3 Depth=1
	s_or_b32 exec_lo, exec_lo, s19
	s_and_saveexec_b32 s57, s18
	s_cbranch_execnz .LBB73_51
.LBB73_35:                              ;   in Loop: Header=BB73_3 Depth=1
	s_or_b32 exec_lo, exec_lo, s57
	s_and_saveexec_b32 s20, s17
	s_cbranch_execnz .LBB73_52
.LBB73_36:                              ;   in Loop: Header=BB73_3 Depth=1
	s_or_b32 exec_lo, exec_lo, s20
	s_and_saveexec_b32 s19, s16
	s_cbranch_execnz .LBB73_53
.LBB73_37:                              ;   in Loop: Header=BB73_3 Depth=1
	s_or_b32 exec_lo, exec_lo, s19
	s_and_saveexec_b32 s18, s15
	s_cbranch_execnz .LBB73_54
.LBB73_38:                              ;   in Loop: Header=BB73_3 Depth=1
	s_or_b32 exec_lo, exec_lo, s18
	s_and_saveexec_b32 s17, s14
	s_cbranch_execnz .LBB73_55
.LBB73_39:                              ;   in Loop: Header=BB73_3 Depth=1
	s_or_b32 exec_lo, exec_lo, s17
	s_and_saveexec_b32 s16, s13
	s_cbranch_execnz .LBB73_56
.LBB73_40:                              ;   in Loop: Header=BB73_3 Depth=1
	s_or_b32 exec_lo, exec_lo, s16
	s_and_saveexec_b32 s15, s12
	s_cbranch_execnz .LBB73_57
.LBB73_41:                              ;   in Loop: Header=BB73_3 Depth=1
	s_or_b32 exec_lo, exec_lo, s15
	s_and_saveexec_b32 s14, s11
	s_cbranch_execnz .LBB73_58
.LBB73_42:                              ;   in Loop: Header=BB73_3 Depth=1
	s_or_b32 exec_lo, exec_lo, s14
	s_and_saveexec_b32 s13, s10
	s_cbranch_execnz .LBB73_59
.LBB73_43:                              ;   in Loop: Header=BB73_3 Depth=1
	s_or_b32 exec_lo, exec_lo, s13
	s_and_saveexec_b32 s12, s9
	s_cbranch_execnz .LBB73_60
.LBB73_44:                              ;   in Loop: Header=BB73_3 Depth=1
	s_or_b32 exec_lo, exec_lo, s12
	s_and_saveexec_b32 s11, s8
	s_cbranch_execnz .LBB73_61
.LBB73_45:                              ;   in Loop: Header=BB73_3 Depth=1
	s_or_b32 exec_lo, exec_lo, s11
	s_and_saveexec_b32 s10, s7
	s_cbranch_execnz .LBB73_62
.LBB73_46:                              ;   in Loop: Header=BB73_3 Depth=1
	s_or_b32 exec_lo, exec_lo, s10
	s_and_saveexec_b32 s9, s6
	s_cbranch_execnz .LBB73_63
.LBB73_47:                              ;   in Loop: Header=BB73_3 Depth=1
	s_or_b32 exec_lo, exec_lo, s9
	s_and_saveexec_b32 s8, s5
	s_cbranch_execnz .LBB73_64
.LBB73_48:                              ;   in Loop: Header=BB73_3 Depth=1
	s_or_b32 exec_lo, exec_lo, s8
	s_and_saveexec_b32 s7, s4
	s_cbranch_execnz .LBB73_65
.LBB73_49:                              ;   in Loop: Header=BB73_3 Depth=1
	s_or_b32 exec_lo, exec_lo, s7
	s_and_saveexec_b32 s6, vcc_lo
	s_cbranch_execz .LBB73_2
	s_branch .LBB73_66
.LBB73_50:                              ;   in Loop: Header=BB73_3 Depth=1
	s_wait_loadcnt 0x0
	global_load_b64 v[32:33], v38, s[38:39] scale_offset
	s_wait_xcnt 0x0
	s_or_b32 exec_lo, exec_lo, s19
	s_and_saveexec_b32 s57, s18
	s_cbranch_execz .LBB73_35
.LBB73_51:                              ;   in Loop: Header=BB73_3 Depth=1
	s_wait_loadcnt 0x0
	v_cmp_u_f64_e64 s20, v[2:3], v[2:3]
	s_wait_kmcnt 0x0
	v_cmp_eq_f64_e64 s18, s[22:23], v[2:3]
	v_cmp_gt_i32_e64 s19, s28, v35
	s_delay_alu instid0(VALU_DEP_3) | instskip(SKIP_2) | instid1(SALU_CYCLE_1)
	v_add_co_ci_u32_e64 v1, null, 0, v1, s20
	v_cmp_gt_f64_e64 s20, s[22:23], v[2:3]
	s_and_b32 s18, s19, s18
	v_add_co_ci_u32_e64 v37, null, 0, v37, s18
	v_add_co_ci_u32_e64 v36, null, 0, v36, s20
	s_or_b32 exec_lo, exec_lo, s57
	s_and_saveexec_b32 s20, s17
	s_cbranch_execz .LBB73_36
.LBB73_52:                              ;   in Loop: Header=BB73_3 Depth=1
	s_wait_loadcnt 0x0
	v_cmp_u_f64_e64 s19, v[4:5], v[4:5]
	s_wait_kmcnt 0x0
	v_cmp_eq_f64_e64 s17, s[22:23], v[4:5]
	v_cmp_gt_i32_e64 s18, s28, v52
	s_delay_alu instid0(VALU_DEP_3) | instskip(SKIP_2) | instid1(SALU_CYCLE_1)
	v_add_co_ci_u32_e64 v1, null, 0, v1, s19
	v_cmp_gt_f64_e64 s19, s[22:23], v[4:5]
	s_and_b32 s17, s18, s17
	v_add_co_ci_u32_e64 v37, null, 0, v37, s17
	v_add_co_ci_u32_e64 v36, null, 0, v36, s19
	s_or_b32 exec_lo, exec_lo, s20
	s_and_saveexec_b32 s19, s16
	s_cbranch_execz .LBB73_37
.LBB73_53:                              ;   in Loop: Header=BB73_3 Depth=1
	s_wait_loadcnt 0x0
	v_cmp_u_f64_e64 s18, v[6:7], v[6:7]
	s_wait_kmcnt 0x0
	v_cmp_eq_f64_e64 s16, s[22:23], v[6:7]
	v_cmp_gt_i32_e64 s17, s28, v51
	s_delay_alu instid0(VALU_DEP_3) | instskip(SKIP_2) | instid1(SALU_CYCLE_1)
	v_add_co_ci_u32_e64 v1, null, 0, v1, s18
	v_cmp_gt_f64_e64 s18, s[22:23], v[6:7]
	s_and_b32 s16, s17, s16
	v_add_co_ci_u32_e64 v37, null, 0, v37, s16
	v_add_co_ci_u32_e64 v36, null, 0, v36, s18
	s_or_b32 exec_lo, exec_lo, s19
	s_and_saveexec_b32 s18, s15
	s_cbranch_execz .LBB73_38
.LBB73_54:                              ;   in Loop: Header=BB73_3 Depth=1
	s_wait_loadcnt 0x0
	v_cmp_u_f64_e64 s17, v[8:9], v[8:9]
	s_wait_kmcnt 0x0
	v_cmp_eq_f64_e64 s15, s[22:23], v[8:9]
	v_cmp_gt_i32_e64 s16, s28, v50
	s_delay_alu instid0(VALU_DEP_3) | instskip(SKIP_2) | instid1(SALU_CYCLE_1)
	v_add_co_ci_u32_e64 v1, null, 0, v1, s17
	v_cmp_gt_f64_e64 s17, s[22:23], v[8:9]
	s_and_b32 s15, s16, s15
	v_add_co_ci_u32_e64 v37, null, 0, v37, s15
	v_add_co_ci_u32_e64 v36, null, 0, v36, s17
	s_or_b32 exec_lo, exec_lo, s18
	s_and_saveexec_b32 s17, s14
	s_cbranch_execz .LBB73_39
.LBB73_55:                              ;   in Loop: Header=BB73_3 Depth=1
	s_wait_loadcnt 0x0
	v_cmp_u_f64_e64 s16, v[10:11], v[10:11]
	s_wait_kmcnt 0x0
	v_cmp_eq_f64_e64 s14, s[22:23], v[10:11]
	v_cmp_gt_i32_e64 s15, s28, v49
	s_delay_alu instid0(VALU_DEP_3) | instskip(SKIP_2) | instid1(SALU_CYCLE_1)
	v_add_co_ci_u32_e64 v1, null, 0, v1, s16
	v_cmp_gt_f64_e64 s16, s[22:23], v[10:11]
	s_and_b32 s14, s15, s14
	v_add_co_ci_u32_e64 v37, null, 0, v37, s14
	v_add_co_ci_u32_e64 v36, null, 0, v36, s16
	s_or_b32 exec_lo, exec_lo, s17
	s_and_saveexec_b32 s16, s13
	s_cbranch_execz .LBB73_40
.LBB73_56:                              ;   in Loop: Header=BB73_3 Depth=1
	s_wait_loadcnt 0x0
	v_cmp_u_f64_e64 s15, v[12:13], v[12:13]
	s_wait_kmcnt 0x0
	v_cmp_eq_f64_e64 s13, s[22:23], v[12:13]
	v_cmp_gt_i32_e64 s14, s28, v48
	s_delay_alu instid0(VALU_DEP_3) | instskip(SKIP_2) | instid1(SALU_CYCLE_1)
	v_add_co_ci_u32_e64 v1, null, 0, v1, s15
	v_cmp_gt_f64_e64 s15, s[22:23], v[12:13]
	s_and_b32 s13, s14, s13
	v_add_co_ci_u32_e64 v37, null, 0, v37, s13
	v_add_co_ci_u32_e64 v36, null, 0, v36, s15
	s_or_b32 exec_lo, exec_lo, s16
	s_and_saveexec_b32 s15, s12
	s_cbranch_execz .LBB73_41
.LBB73_57:                              ;   in Loop: Header=BB73_3 Depth=1
	s_wait_loadcnt 0x0
	v_cmp_u_f64_e64 s14, v[14:15], v[14:15]
	s_wait_kmcnt 0x0
	v_cmp_eq_f64_e64 s12, s[22:23], v[14:15]
	v_cmp_gt_i32_e64 s13, s28, v47
	s_delay_alu instid0(VALU_DEP_3) | instskip(SKIP_2) | instid1(SALU_CYCLE_1)
	v_add_co_ci_u32_e64 v1, null, 0, v1, s14
	v_cmp_gt_f64_e64 s14, s[22:23], v[14:15]
	s_and_b32 s12, s13, s12
	v_add_co_ci_u32_e64 v37, null, 0, v37, s12
	v_add_co_ci_u32_e64 v36, null, 0, v36, s14
	s_or_b32 exec_lo, exec_lo, s15
	s_and_saveexec_b32 s14, s11
	s_cbranch_execz .LBB73_42
.LBB73_58:                              ;   in Loop: Header=BB73_3 Depth=1
	s_wait_loadcnt 0x0
	v_cmp_u_f64_e64 s13, v[16:17], v[16:17]
	s_wait_kmcnt 0x0
	v_cmp_eq_f64_e64 s11, s[22:23], v[16:17]
	v_cmp_gt_i32_e64 s12, s28, v46
	s_delay_alu instid0(VALU_DEP_3) | instskip(SKIP_2) | instid1(SALU_CYCLE_1)
	v_add_co_ci_u32_e64 v1, null, 0, v1, s13
	v_cmp_gt_f64_e64 s13, s[22:23], v[16:17]
	s_and_b32 s11, s12, s11
	v_add_co_ci_u32_e64 v37, null, 0, v37, s11
	v_add_co_ci_u32_e64 v36, null, 0, v36, s13
	s_or_b32 exec_lo, exec_lo, s14
	s_and_saveexec_b32 s13, s10
	s_cbranch_execz .LBB73_43
.LBB73_59:                              ;   in Loop: Header=BB73_3 Depth=1
	s_wait_loadcnt 0x0
	v_cmp_u_f64_e64 s12, v[18:19], v[18:19]
	s_wait_kmcnt 0x0
	v_cmp_eq_f64_e64 s10, s[22:23], v[18:19]
	v_cmp_gt_i32_e64 s11, s28, v45
	s_delay_alu instid0(VALU_DEP_3) | instskip(SKIP_2) | instid1(SALU_CYCLE_1)
	v_add_co_ci_u32_e64 v1, null, 0, v1, s12
	v_cmp_gt_f64_e64 s12, s[22:23], v[18:19]
	s_and_b32 s10, s11, s10
	v_add_co_ci_u32_e64 v37, null, 0, v37, s10
	v_add_co_ci_u32_e64 v36, null, 0, v36, s12
	s_or_b32 exec_lo, exec_lo, s13
	s_and_saveexec_b32 s12, s9
	s_cbranch_execz .LBB73_44
.LBB73_60:                              ;   in Loop: Header=BB73_3 Depth=1
	s_wait_loadcnt 0x0
	v_cmp_u_f64_e64 s11, v[20:21], v[20:21]
	s_wait_kmcnt 0x0
	v_cmp_eq_f64_e64 s9, s[22:23], v[20:21]
	v_cmp_gt_i32_e64 s10, s28, v44
	s_delay_alu instid0(VALU_DEP_3) | instskip(SKIP_2) | instid1(SALU_CYCLE_1)
	v_add_co_ci_u32_e64 v1, null, 0, v1, s11
	v_cmp_gt_f64_e64 s11, s[22:23], v[20:21]
	s_and_b32 s9, s10, s9
	v_add_co_ci_u32_e64 v37, null, 0, v37, s9
	v_add_co_ci_u32_e64 v36, null, 0, v36, s11
	s_or_b32 exec_lo, exec_lo, s12
	s_and_saveexec_b32 s11, s8
	s_cbranch_execz .LBB73_45
.LBB73_61:                              ;   in Loop: Header=BB73_3 Depth=1
	s_wait_loadcnt 0x0
	v_cmp_u_f64_e64 s10, v[22:23], v[22:23]
	s_wait_kmcnt 0x0
	v_cmp_eq_f64_e64 s8, s[22:23], v[22:23]
	v_cmp_gt_i32_e64 s9, s28, v43
	s_delay_alu instid0(VALU_DEP_3) | instskip(SKIP_2) | instid1(SALU_CYCLE_1)
	v_add_co_ci_u32_e64 v1, null, 0, v1, s10
	v_cmp_gt_f64_e64 s10, s[22:23], v[22:23]
	s_and_b32 s8, s9, s8
	v_add_co_ci_u32_e64 v37, null, 0, v37, s8
	v_add_co_ci_u32_e64 v36, null, 0, v36, s10
	s_or_b32 exec_lo, exec_lo, s11
	s_and_saveexec_b32 s10, s7
	s_cbranch_execz .LBB73_46
.LBB73_62:                              ;   in Loop: Header=BB73_3 Depth=1
	s_wait_loadcnt 0x0
	v_cmp_u_f64_e64 s9, v[24:25], v[24:25]
	s_wait_kmcnt 0x0
	v_cmp_eq_f64_e64 s7, s[22:23], v[24:25]
	v_cmp_gt_i32_e64 s8, s28, v42
	s_delay_alu instid0(VALU_DEP_3) | instskip(SKIP_2) | instid1(SALU_CYCLE_1)
	v_add_co_ci_u32_e64 v1, null, 0, v1, s9
	v_cmp_gt_f64_e64 s9, s[22:23], v[24:25]
	s_and_b32 s7, s8, s7
	v_add_co_ci_u32_e64 v37, null, 0, v37, s7
	v_add_co_ci_u32_e64 v36, null, 0, v36, s9
	s_or_b32 exec_lo, exec_lo, s10
	s_and_saveexec_b32 s9, s6
	s_cbranch_execz .LBB73_47
.LBB73_63:                              ;   in Loop: Header=BB73_3 Depth=1
	s_wait_loadcnt 0x0
	v_cmp_u_f64_e64 s8, v[26:27], v[26:27]
	s_wait_kmcnt 0x0
	v_cmp_eq_f64_e64 s6, s[22:23], v[26:27]
	v_cmp_gt_i32_e64 s7, s28, v41
	s_delay_alu instid0(VALU_DEP_3) | instskip(SKIP_2) | instid1(SALU_CYCLE_1)
	v_add_co_ci_u32_e64 v1, null, 0, v1, s8
	v_cmp_gt_f64_e64 s8, s[22:23], v[26:27]
	s_and_b32 s6, s7, s6
	v_add_co_ci_u32_e64 v37, null, 0, v37, s6
	v_add_co_ci_u32_e64 v36, null, 0, v36, s8
	s_or_b32 exec_lo, exec_lo, s9
	s_and_saveexec_b32 s8, s5
	s_cbranch_execz .LBB73_48
.LBB73_64:                              ;   in Loop: Header=BB73_3 Depth=1
	s_wait_loadcnt 0x0
	v_cmp_u_f64_e64 s7, v[28:29], v[28:29]
	s_wait_kmcnt 0x0
	v_cmp_eq_f64_e64 s5, s[22:23], v[28:29]
	v_cmp_gt_i32_e64 s6, s28, v40
	s_delay_alu instid0(VALU_DEP_3) | instskip(SKIP_2) | instid1(SALU_CYCLE_1)
	v_add_co_ci_u32_e64 v1, null, 0, v1, s7
	v_cmp_gt_f64_e64 s7, s[22:23], v[28:29]
	s_and_b32 s5, s6, s5
	v_add_co_ci_u32_e64 v37, null, 0, v37, s5
	v_add_co_ci_u32_e64 v36, null, 0, v36, s7
	s_or_b32 exec_lo, exec_lo, s8
	s_and_saveexec_b32 s7, s4
	s_cbranch_execz .LBB73_49
.LBB73_65:                              ;   in Loop: Header=BB73_3 Depth=1
	s_wait_loadcnt 0x0
	v_cmp_u_f64_e64 s6, v[30:31], v[30:31]
	s_wait_kmcnt 0x0
	v_cmp_eq_f64_e64 s4, s[22:23], v[30:31]
	v_cmp_gt_i32_e64 s5, s28, v39
	s_delay_alu instid0(VALU_DEP_3) | instskip(SKIP_2) | instid1(SALU_CYCLE_1)
	v_add_co_ci_u32_e64 v1, null, 0, v1, s6
	v_cmp_gt_f64_e64 s6, s[22:23], v[30:31]
	s_and_b32 s4, s5, s4
	v_add_co_ci_u32_e64 v37, null, 0, v37, s4
	v_add_co_ci_u32_e64 v36, null, 0, v36, s6
	s_or_b32 exec_lo, exec_lo, s7
	s_and_saveexec_b32 s6, vcc_lo
	s_cbranch_execz .LBB73_2
.LBB73_66:                              ;   in Loop: Header=BB73_3 Depth=1
	s_wait_loadcnt 0x0
	v_cmp_u_f64_e64 s5, v[32:33], v[32:33]
	s_wait_kmcnt 0x0
	v_cmp_eq_f64_e32 vcc_lo, s[22:23], v[32:33]
	v_cmp_gt_i32_e64 s4, s28, v38
	s_delay_alu instid0(VALU_DEP_3) | instskip(SKIP_2) | instid1(SALU_CYCLE_1)
	v_add_co_ci_u32_e64 v1, null, 0, v1, s5
	v_cmp_gt_f64_e64 s5, s[22:23], v[32:33]
	s_and_b32 vcc_lo, s4, vcc_lo
	v_add_co_ci_u32_e64 v37, null, 0, v37, vcc_lo
	v_add_co_ci_u32_e64 v36, null, 0, v36, s5
	s_branch .LBB73_2
.LBB73_67:
	v_mov_b32_e32 v35, 0
                                        ; implicit-def: $vgpr2_vgpr3
                                        ; implicit-def: $vgpr6_vgpr7
                                        ; implicit-def: $vgpr10_vgpr11
                                        ; implicit-def: $vgpr14_vgpr15
                                        ; implicit-def: $vgpr18_vgpr19
                                        ; implicit-def: $vgpr22_vgpr23
                                        ; implicit-def: $vgpr26_vgpr27
                                        ; implicit-def: $vgpr30_vgpr31
	v_lshlrev_b32_e32 v1, 2, v34
	s_cmp_lt_u32 s33, 2
	ds_store_b32 v1, v35
	s_cbranch_scc0 .LBB73_69
	s_branch .LBB73_73
.LBB73_68:
	v_add_nc_u32_e32 v35, v36, v37
	v_cmp_eq_u32_e64 s4, 0, v1
	v_lshlrev_b32_e32 v1, 2, v34
	s_cmp_lt_u32 s33, 2
	ds_store_b32 v1, v35
	s_cbranch_scc1 .LBB73_73
.LBB73_69:
	s_mov_b32 s5, s33
	s_branch .LBB73_71
.LBB73_70:                              ;   in Loop: Header=BB73_71 Depth=1
	s_or_b32 exec_lo, exec_lo, s7
	s_cmp_lt_u32 s5, 4
	s_mov_b32 s5, s6
	s_cbranch_scc1 .LBB73_73
.LBB73_71:                              ; =>This Inner Loop Header: Depth=1
	s_lshr_b32 s6, s5, 1
	s_mov_b32 s7, exec_lo
	s_wait_loadcnt_dscnt 0x0
	s_barrier_signal -1
	s_barrier_wait -1
	v_cmpx_gt_u32_e64 s6, v34
	s_cbranch_execz .LBB73_70
; %bb.72:                               ;   in Loop: Header=BB73_71 Depth=1
	v_lshl_add_u32 v36, s6, 2, v1
	ds_load_b32 v36, v36
	s_wait_dscnt 0x0
	v_add_nc_u32_e32 v35, v36, v35
	ds_store_b32 v1, v35
	s_branch .LBB73_70
.LBB73_73:
	v_mov_b32_e32 v1, 0
	s_wait_loadcnt_dscnt 0x0
	s_barrier_signal -1
	s_barrier_wait -1
	ds_load_b32 v1, v1
	s_mul_u64 s[6:7], s[26:27], s[30:31]
	s_delay_alu instid0(SALU_CYCLE_1)
	s_lshl_b64 s[8:9], s[6:7], 3
	s_xor_b32 s7, s4, -1
	s_add_nc_u64 s[4:5], s[24:25], s[8:9]
	s_mov_b32 s6, exec_lo
	v_cmpx_eq_u32_e32 0, v34
	s_cbranch_execnz .LBB73_76
; %bb.74:
	s_or_b32 exec_lo, exec_lo, s6
	s_and_saveexec_b32 s6, s7
	s_cbranch_execnz .LBB73_77
.LBB73_75:
	s_or_b32 exec_lo, exec_lo, s6
	s_delay_alu instid0(SALU_CYCLE_1)
	s_and_not1_b32 vcc_lo, exec_lo, s52
	s_cbranch_vccz .LBB73_78
	s_branch .LBB73_144
.LBB73_76:
	s_wait_kmcnt 0x0
	v_mov_b64_e32 v[36:37], s[22:23]
	s_wait_dscnt 0x0
	global_store_b64 v1, v[36:37], s[4:5] scale_offset
	s_wait_xcnt 0x0
	s_or_b32 exec_lo, exec_lo, s6
	s_and_saveexec_b32 s6, s7
	s_cbranch_execz .LBB73_75
.LBB73_77:
	v_mov_b64_e32 v[36:37], 0x7ff8000000000000
	v_mov_b32_e32 v35, 0
	s_add_nc_u64 s[4:5], s[4:5], s[36:37]
	global_store_b64 v35, v[36:37], s[4:5]
	s_wait_xcnt 0x0
	s_or_b32 exec_lo, exec_lo, s6
	s_delay_alu instid0(SALU_CYCLE_1)
	s_and_not1_b32 vcc_lo, exec_lo, s52
	s_cbranch_vccnz .LBB73_144
.LBB73_78:
	s_clause 0x1
	s_load_b64 s[12:13], s[2:3], 0x30
	s_load_b256 s[4:11], s[2:3], 0x38
	s_load_b64 s[14:15], s[0:1], 0x4
	v_bfe_u32 v35, v0, 10, 10
	v_bfe_u32 v36, v0, 20, 10
	s_lshl_b32 s18, s33, 1
	s_lshl_b32 s19, s33, 2
	;; [unrolled: 1-line block ×3, first 2 shown]
	s_wait_kmcnt 0x0
	s_ashr_i32 s1, s12, 31
	s_wait_dscnt 0x0
	v_mul_lo_u32 v0, v1, s9
	v_mul_u32_u24_e32 v35, s15, v35
	s_mul_u64 s[2:3], s[4:5], s[30:31]
	s_ashr_i32 s5, s8, 31
	s_mov_b32 s4, s8
	s_lshr_b32 s8, s14, 16
	s_mul_u64 s[10:11], s[10:11], s[30:31]
	s_mul_i32 s8, s8, s15
	s_mov_b32 s0, s12
	v_mad_u32 v35, s8, v34, v35
	s_lshl_b64 s[2:3], s[2:3], 4
	v_ashrrev_i32_e32 v1, 31, v0
	s_lshl_b64 s[10:11], s[10:11], 4
	s_lshl_b64 s[0:1], s[0:1], 4
	;; [unrolled: 1-line block ×3, first 2 shown]
	s_add_nc_u64 s[2:3], s[34:35], s[2:3]
	v_lshlrev_b64_e32 v[0:1], 4, v[0:1]
	s_add_nc_u64 s[6:7], s[6:7], s[10:11]
	s_add_nc_u64 s[0:1], s[2:3], s[0:1]
	;; [unrolled: 1-line block ×3, first 2 shown]
	v_add_lshl_u32 v42, v35, v36, 4
	s_mul_i32 s8, s13, s28
	s_add_co_i32 s15, s51, 1
	v_add_nc_u64_e32 v[0:1], s[2:3], v[0:1]
	s_ashr_i32 s9, s8, 31
	v_add_nc_u32_e32 v35, 0xe800, v42
	v_add_nc_u32_e32 v36, 0xc800, v42
	;; [unrolled: 1-line block ×8, first 2 shown]
	s_lshl_b64 s[8:9], s[8:9], 4
	s_delay_alu instid0(SALU_CYCLE_1)
	s_add_nc_u64 s[16:17], s[0:1], s[8:9]
	s_branch .LBB73_80
.LBB73_79:                              ;   in Loop: Header=BB73_80 Depth=1
	s_wait_xcnt 0x0
	s_or_b32 exec_lo, exec_lo, s0
	v_add_nc_u32_e32 v34, s41, v34
	s_add_co_i32 s15, s15, -1
	s_delay_alu instid0(SALU_CYCLE_1)
	s_cmp_eq_u32 s15, 0
	s_cbranch_scc1 .LBB73_144
.LBB73_80:                              ; =>This Inner Loop Header: Depth=1
	s_delay_alu instid0(VALU_DEP_1)
	v_cmp_gt_i32_e32 vcc_lo, s40, v34
	s_and_saveexec_b32 s0, vcc_lo
	s_cbranch_execz .LBB73_82
; %bb.81:                               ;   in Loop: Header=BB73_80 Depth=1
	s_wait_loadcnt 0x0
	global_load_b128 v[2:5], v34, s[16:17] scale_offset
.LBB73_82:                              ;   in Loop: Header=BB73_80 Depth=1
	s_wait_xcnt 0x0
	s_or_b32 exec_lo, exec_lo, s0
	v_add_nc_u32_e32 v43, s33, v34
	s_delay_alu instid0(VALU_DEP_1)
	v_cmp_gt_i32_e64 s0, s40, v43
	s_and_saveexec_b32 s1, s0
	s_cbranch_execz .LBB73_84
; %bb.83:                               ;   in Loop: Header=BB73_80 Depth=1
	s_wait_loadcnt 0x0
	global_load_b128 v[6:9], v43, s[16:17] scale_offset
.LBB73_84:                              ;   in Loop: Header=BB73_80 Depth=1
	s_wait_xcnt 0x0
	s_or_b32 exec_lo, exec_lo, s1
	v_dual_add_nc_u32 v45, s33, v43 :: v_dual_add_nc_u32 v44, s18, v34
	s_delay_alu instid0(VALU_DEP_1)
	v_cmp_gt_i32_e64 s1, s40, v45
	s_and_saveexec_b32 s2, s1
	s_cbranch_execz .LBB73_86
; %bb.85:                               ;   in Loop: Header=BB73_80 Depth=1
	s_wait_loadcnt 0x0
	global_load_b128 v[10:13], v44, s[16:17] scale_offset
.LBB73_86:                              ;   in Loop: Header=BB73_80 Depth=1
	s_wait_xcnt 0x0
	s_or_b32 exec_lo, exec_lo, s2
	v_dual_add_nc_u32 v46, s33, v45 :: v_dual_add_nc_u32 v45, s29, v34
	s_delay_alu instid0(VALU_DEP_1)
	v_cmp_gt_i32_e64 s2, s40, v46
	s_and_saveexec_b32 s3, s2
	s_cbranch_execz .LBB73_88
; %bb.87:                               ;   in Loop: Header=BB73_80 Depth=1
	s_wait_loadcnt 0x0
	global_load_b128 v[14:17], v45, s[16:17] scale_offset
.LBB73_88:                              ;   in Loop: Header=BB73_80 Depth=1
	s_wait_xcnt 0x0
	s_or_b32 exec_lo, exec_lo, s3
	v_add_nc_u32_e32 v47, s33, v46
	v_add_nc_u32_e32 v46, s19, v34
	s_delay_alu instid0(VALU_DEP_2)
	v_cmp_gt_i32_e64 s3, s40, v47
	s_and_saveexec_b32 s4, s3
	s_cbranch_execz .LBB73_90
; %bb.89:                               ;   in Loop: Header=BB73_80 Depth=1
	s_wait_loadcnt 0x0
	global_load_b128 v[18:21], v46, s[16:17] scale_offset
.LBB73_90:                              ;   in Loop: Header=BB73_80 Depth=1
	s_wait_xcnt 0x0
	s_or_b32 exec_lo, exec_lo, s4
	v_dual_add_nc_u32 v48, s33, v47 :: v_dual_add_nc_u32 v47, s42, v34
	s_delay_alu instid0(VALU_DEP_1)
	v_cmp_gt_i32_e64 s4, s40, v48
	s_and_saveexec_b32 s5, s4
	s_cbranch_execz .LBB73_92
; %bb.91:                               ;   in Loop: Header=BB73_80 Depth=1
	s_wait_loadcnt 0x0
	global_load_b128 v[22:25], v47, s[16:17] scale_offset
.LBB73_92:                              ;   in Loop: Header=BB73_80 Depth=1
	s_wait_xcnt 0x0
	s_or_b32 exec_lo, exec_lo, s5
	v_dual_add_nc_u32 v49, s33, v48 :: v_dual_add_nc_u32 v48, s43, v34
	s_delay_alu instid0(VALU_DEP_1)
	;; [unrolled: 11-line block ×3, first 2 shown]
	v_cmp_gt_i32_e64 s6, s40, v50
	s_and_saveexec_b32 s7, s6
	s_cbranch_execz .LBB73_96
; %bb.95:                               ;   in Loop: Header=BB73_80 Depth=1
	s_wait_loadcnt 0x0
	global_load_b128 v[30:33], v49, s[16:17] scale_offset
.LBB73_96:                              ;   in Loop: Header=BB73_80 Depth=1
	s_wait_xcnt 0x0
	s_or_b32 exec_lo, exec_lo, s7
	v_add_nc_u32_e32 v51, s33, v50
	v_add_nc_u32_e32 v50, s20, v34
	s_delay_alu instid0(VALU_DEP_2)
	v_cmp_gt_i32_e64 s7, s40, v51
	s_and_saveexec_b32 s8, s7
	s_cbranch_execz .LBB73_98
; %bb.97:                               ;   in Loop: Header=BB73_80 Depth=1
	global_load_b128 v[52:55], v50, s[16:17] scale_offset
	s_wait_loadcnt 0x0
	ds_store_2addr_b64 v35, v[52:53], v[54:55] offset1:1
.LBB73_98:                              ;   in Loop: Header=BB73_80 Depth=1
	s_wait_xcnt 0x0
	s_or_b32 exec_lo, exec_lo, s8
	v_dual_add_nc_u32 v52, s33, v51 :: v_dual_add_nc_u32 v51, s44, v34
	s_delay_alu instid0(VALU_DEP_1)
	v_cmp_gt_i32_e64 s8, s40, v52
	s_and_saveexec_b32 s9, s8
	s_cbranch_execz .LBB73_100
; %bb.99:                               ;   in Loop: Header=BB73_80 Depth=1
	global_load_b128 v[54:57], v51, s[16:17] scale_offset
	s_wait_loadcnt 0x0
	ds_store_2addr_b64 v36, v[54:55], v[56:57] offset1:1
.LBB73_100:                             ;   in Loop: Header=BB73_80 Depth=1
	s_wait_xcnt 0x0
	s_or_b32 exec_lo, exec_lo, s9
	v_dual_add_nc_u32 v53, s33, v52 :: v_dual_add_nc_u32 v52, s45, v34
	s_delay_alu instid0(VALU_DEP_1)
	v_cmp_gt_i32_e64 s9, s40, v53
	s_and_saveexec_b32 s10, s9
	s_cbranch_execz .LBB73_102
; %bb.101:                              ;   in Loop: Header=BB73_80 Depth=1
	global_load_b128 v[54:57], v52, s[16:17] scale_offset
	s_wait_loadcnt 0x0
	ds_store_2addr_b64 v37, v[54:55], v[56:57] offset1:1
.LBB73_102:                             ;   in Loop: Header=BB73_80 Depth=1
	s_wait_xcnt 0x0
	s_or_b32 exec_lo, exec_lo, s10
	v_dual_add_nc_u32 v54, s33, v53 :: v_dual_add_nc_u32 v53, s46, v34
	s_delay_alu instid0(VALU_DEP_1)
	v_cmp_gt_i32_e64 s10, s40, v54
	s_and_saveexec_b32 s11, s10
	s_cbranch_execz .LBB73_104
; %bb.103:                              ;   in Loop: Header=BB73_80 Depth=1
	global_load_b128 v[56:59], v53, s[16:17] scale_offset
	s_wait_loadcnt 0x0
	ds_store_2addr_b64 v38, v[56:57], v[58:59] offset1:1
.LBB73_104:                             ;   in Loop: Header=BB73_80 Depth=1
	s_wait_xcnt 0x0
	s_or_b32 exec_lo, exec_lo, s11
	v_add_nc_u32_e32 v55, s33, v54
	v_add_nc_u32_e32 v54, s47, v34
	s_delay_alu instid0(VALU_DEP_2)
	v_cmp_gt_i32_e64 s11, s40, v55
	s_and_saveexec_b32 s12, s11
	s_cbranch_execz .LBB73_106
; %bb.105:                              ;   in Loop: Header=BB73_80 Depth=1
	global_load_b128 v[56:59], v54, s[16:17] scale_offset
	s_wait_loadcnt 0x0
	ds_store_2addr_b64 v39, v[56:57], v[58:59] offset1:1
.LBB73_106:                             ;   in Loop: Header=BB73_80 Depth=1
	s_wait_xcnt 0x0
	s_or_b32 exec_lo, exec_lo, s12
	v_dual_add_nc_u32 v56, s33, v55 :: v_dual_add_nc_u32 v55, s48, v34
	s_delay_alu instid0(VALU_DEP_1)
	v_cmp_gt_i32_e64 s12, s40, v56
	s_and_saveexec_b32 s13, s12
	s_cbranch_execz .LBB73_108
; %bb.107:                              ;   in Loop: Header=BB73_80 Depth=1
	global_load_b128 v[58:61], v55, s[16:17] scale_offset
	s_wait_loadcnt 0x0
	ds_store_2addr_b64 v40, v[58:59], v[60:61] offset1:1
.LBB73_108:                             ;   in Loop: Header=BB73_80 Depth=1
	s_wait_xcnt 0x0
	s_or_b32 exec_lo, exec_lo, s13
	v_dual_add_nc_u32 v57, s33, v56 :: v_dual_add_nc_u32 v56, s49, v34
	s_delay_alu instid0(VALU_DEP_1)
	;; [unrolled: 12-line block ×3, first 2 shown]
	v_cmp_gt_i32_e64 s14, s40, v58
	s_and_saveexec_b32 s22, s14
	s_cbranch_execnz .LBB73_127
; %bb.111:                              ;   in Loop: Header=BB73_80 Depth=1
	s_or_b32 exec_lo, exec_lo, s22
	s_and_saveexec_b32 s22, vcc_lo
	s_cbranch_execnz .LBB73_128
.LBB73_112:                             ;   in Loop: Header=BB73_80 Depth=1
	s_or_b32 exec_lo, exec_lo, s22
	s_and_saveexec_b32 s22, s0
	s_cbranch_execnz .LBB73_129
.LBB73_113:                             ;   in Loop: Header=BB73_80 Depth=1
	s_or_b32 exec_lo, exec_lo, s22
	s_and_saveexec_b32 s0, s1
	s_cbranch_execnz .LBB73_130
.LBB73_114:                             ;   in Loop: Header=BB73_80 Depth=1
	s_or_b32 exec_lo, exec_lo, s0
	s_and_saveexec_b32 s0, s2
	s_cbranch_execnz .LBB73_131
.LBB73_115:                             ;   in Loop: Header=BB73_80 Depth=1
	s_or_b32 exec_lo, exec_lo, s0
	s_and_saveexec_b32 s0, s3
	s_cbranch_execnz .LBB73_132
.LBB73_116:                             ;   in Loop: Header=BB73_80 Depth=1
	s_or_b32 exec_lo, exec_lo, s0
	s_and_saveexec_b32 s0, s4
	s_cbranch_execnz .LBB73_133
.LBB73_117:                             ;   in Loop: Header=BB73_80 Depth=1
	s_or_b32 exec_lo, exec_lo, s0
	s_and_saveexec_b32 s0, s5
	s_cbranch_execnz .LBB73_134
.LBB73_118:                             ;   in Loop: Header=BB73_80 Depth=1
	s_or_b32 exec_lo, exec_lo, s0
	s_and_saveexec_b32 s0, s6
	s_cbranch_execnz .LBB73_135
.LBB73_119:                             ;   in Loop: Header=BB73_80 Depth=1
	s_or_b32 exec_lo, exec_lo, s0
	s_and_saveexec_b32 s0, s7
	s_cbranch_execnz .LBB73_136
.LBB73_120:                             ;   in Loop: Header=BB73_80 Depth=1
	s_or_b32 exec_lo, exec_lo, s0
	s_and_saveexec_b32 s0, s8
	s_cbranch_execnz .LBB73_137
.LBB73_121:                             ;   in Loop: Header=BB73_80 Depth=1
	s_or_b32 exec_lo, exec_lo, s0
	s_and_saveexec_b32 s0, s9
	s_cbranch_execnz .LBB73_138
.LBB73_122:                             ;   in Loop: Header=BB73_80 Depth=1
	s_or_b32 exec_lo, exec_lo, s0
	s_and_saveexec_b32 s0, s10
	s_cbranch_execnz .LBB73_139
.LBB73_123:                             ;   in Loop: Header=BB73_80 Depth=1
	s_or_b32 exec_lo, exec_lo, s0
	s_and_saveexec_b32 s0, s11
	s_cbranch_execnz .LBB73_140
.LBB73_124:                             ;   in Loop: Header=BB73_80 Depth=1
	s_or_b32 exec_lo, exec_lo, s0
	s_and_saveexec_b32 s0, s12
	s_cbranch_execnz .LBB73_141
.LBB73_125:                             ;   in Loop: Header=BB73_80 Depth=1
	s_or_b32 exec_lo, exec_lo, s0
	s_and_saveexec_b32 s0, s13
	s_cbranch_execnz .LBB73_142
.LBB73_126:                             ;   in Loop: Header=BB73_80 Depth=1
	s_or_b32 exec_lo, exec_lo, s0
	s_and_saveexec_b32 s0, s14
	s_cbranch_execz .LBB73_79
	s_branch .LBB73_143
.LBB73_127:                             ;   in Loop: Header=BB73_80 Depth=1
	global_load_b128 v[58:61], v57, s[16:17] scale_offset
	s_wait_loadcnt 0x0
	ds_store_2addr_b64 v42, v[58:59], v[60:61] offset1:1
	s_wait_xcnt 0x0
	s_or_b32 exec_lo, exec_lo, s22
	s_and_saveexec_b32 s22, vcc_lo
	s_cbranch_execz .LBB73_112
.LBB73_128:                             ;   in Loop: Header=BB73_80 Depth=1
	v_readfirstlane_b32 s24, v0
	v_readfirstlane_b32 s25, v1
	s_wait_loadcnt 0x0
	global_store_b128 v34, v[2:5], s[24:25] scale_offset
	s_wait_xcnt 0x0
	s_or_b32 exec_lo, exec_lo, s22
	s_and_saveexec_b32 s22, s0
	s_cbranch_execz .LBB73_113
.LBB73_129:                             ;   in Loop: Header=BB73_80 Depth=1
	v_readfirstlane_b32 s24, v0
	v_readfirstlane_b32 s25, v1
	s_wait_loadcnt 0x0
	global_store_b128 v43, v[6:9], s[24:25] scale_offset
	s_wait_xcnt 0x0
	s_or_b32 exec_lo, exec_lo, s22
	s_and_saveexec_b32 s0, s1
	s_cbranch_execz .LBB73_114
.LBB73_130:                             ;   in Loop: Header=BB73_80 Depth=1
	v_readfirstlane_b32 s22, v0
	v_readfirstlane_b32 s23, v1
	s_wait_loadcnt 0x0
	global_store_b128 v44, v[10:13], s[22:23] scale_offset
	s_wait_xcnt 0x0
	s_or_b32 exec_lo, exec_lo, s0
	s_and_saveexec_b32 s0, s2
	s_cbranch_execz .LBB73_115
.LBB73_131:                             ;   in Loop: Header=BB73_80 Depth=1
	v_readfirstlane_b32 s22, v0
	v_readfirstlane_b32 s23, v1
	s_wait_loadcnt 0x0
	global_store_b128 v45, v[14:17], s[22:23] scale_offset
	s_wait_xcnt 0x0
	s_or_b32 exec_lo, exec_lo, s0
	s_and_saveexec_b32 s0, s3
	s_cbranch_execz .LBB73_116
.LBB73_132:                             ;   in Loop: Header=BB73_80 Depth=1
	v_readfirstlane_b32 s2, v0
	v_readfirstlane_b32 s3, v1
	s_wait_loadcnt 0x0
	global_store_b128 v46, v[18:21], s[2:3] scale_offset
	s_wait_xcnt 0x0
	s_or_b32 exec_lo, exec_lo, s0
	s_and_saveexec_b32 s0, s4
	s_cbranch_execz .LBB73_117
.LBB73_133:                             ;   in Loop: Header=BB73_80 Depth=1
	v_readfirstlane_b32 s2, v0
	v_readfirstlane_b32 s3, v1
	s_wait_loadcnt 0x0
	global_store_b128 v47, v[22:25], s[2:3] scale_offset
	s_wait_xcnt 0x0
	s_or_b32 exec_lo, exec_lo, s0
	s_and_saveexec_b32 s0, s5
	s_cbranch_execz .LBB73_118
.LBB73_134:                             ;   in Loop: Header=BB73_80 Depth=1
	v_readfirstlane_b32 s2, v0
	v_readfirstlane_b32 s3, v1
	s_wait_loadcnt 0x0
	global_store_b128 v48, v[26:29], s[2:3] scale_offset
	s_wait_xcnt 0x0
	s_or_b32 exec_lo, exec_lo, s0
	s_and_saveexec_b32 s0, s6
	s_cbranch_execz .LBB73_119
.LBB73_135:                             ;   in Loop: Header=BB73_80 Depth=1
	v_readfirstlane_b32 s2, v0
	v_readfirstlane_b32 s3, v1
	s_wait_loadcnt 0x0
	global_store_b128 v49, v[30:33], s[2:3] scale_offset
	s_wait_xcnt 0x0
	s_or_b32 exec_lo, exec_lo, s0
	s_and_saveexec_b32 s0, s7
	s_cbranch_execz .LBB73_120
.LBB73_136:                             ;   in Loop: Header=BB73_80 Depth=1
	ds_load_2addr_b64 v[44:47], v35 offset1:1
	v_readfirstlane_b32 s2, v0
	v_readfirstlane_b32 s3, v1
	s_wait_dscnt 0x0
	global_store_b128 v50, v[44:47], s[2:3] scale_offset
	s_wait_xcnt 0x0
	s_or_b32 exec_lo, exec_lo, s0
	s_and_saveexec_b32 s0, s8
	s_cbranch_execz .LBB73_121
.LBB73_137:                             ;   in Loop: Header=BB73_80 Depth=1
	ds_load_2addr_b64 v[44:47], v36 offset1:1
	v_readfirstlane_b32 s2, v0
	v_readfirstlane_b32 s3, v1
	s_wait_dscnt 0x0
	global_store_b128 v51, v[44:47], s[2:3] scale_offset
	s_wait_xcnt 0x0
	s_or_b32 exec_lo, exec_lo, s0
	s_and_saveexec_b32 s0, s9
	s_cbranch_execz .LBB73_122
.LBB73_138:                             ;   in Loop: Header=BB73_80 Depth=1
	ds_load_2addr_b64 v[44:47], v37 offset1:1
	v_readfirstlane_b32 s2, v0
	v_readfirstlane_b32 s3, v1
	s_wait_dscnt 0x0
	global_store_b128 v52, v[44:47], s[2:3] scale_offset
	s_wait_xcnt 0x0
	s_or_b32 exec_lo, exec_lo, s0
	s_and_saveexec_b32 s0, s10
	s_cbranch_execz .LBB73_123
.LBB73_139:                             ;   in Loop: Header=BB73_80 Depth=1
	ds_load_2addr_b64 v[44:47], v38 offset1:1
	v_readfirstlane_b32 s2, v0
	v_readfirstlane_b32 s3, v1
	s_wait_dscnt 0x0
	global_store_b128 v53, v[44:47], s[2:3] scale_offset
	s_wait_xcnt 0x0
	s_or_b32 exec_lo, exec_lo, s0
	s_and_saveexec_b32 s0, s11
	s_cbranch_execz .LBB73_124
.LBB73_140:                             ;   in Loop: Header=BB73_80 Depth=1
	ds_load_2addr_b64 v[44:47], v39 offset1:1
	v_readfirstlane_b32 s2, v0
	v_readfirstlane_b32 s3, v1
	s_wait_dscnt 0x0
	global_store_b128 v54, v[44:47], s[2:3] scale_offset
	s_wait_xcnt 0x0
	s_or_b32 exec_lo, exec_lo, s0
	s_and_saveexec_b32 s0, s12
	s_cbranch_execz .LBB73_125
.LBB73_141:                             ;   in Loop: Header=BB73_80 Depth=1
	ds_load_2addr_b64 v[44:47], v40 offset1:1
	v_readfirstlane_b32 s2, v0
	v_readfirstlane_b32 s3, v1
	s_wait_dscnt 0x0
	global_store_b128 v55, v[44:47], s[2:3] scale_offset
	s_wait_xcnt 0x0
	s_or_b32 exec_lo, exec_lo, s0
	s_and_saveexec_b32 s0, s13
	s_cbranch_execz .LBB73_126
.LBB73_142:                             ;   in Loop: Header=BB73_80 Depth=1
	ds_load_2addr_b64 v[44:47], v41 offset1:1
	v_readfirstlane_b32 s2, v0
	v_readfirstlane_b32 s3, v1
	s_wait_dscnt 0x0
	global_store_b128 v56, v[44:47], s[2:3] scale_offset
	s_wait_xcnt 0x0
	s_or_b32 exec_lo, exec_lo, s0
	s_and_saveexec_b32 s0, s14
	s_cbranch_execz .LBB73_79
.LBB73_143:                             ;   in Loop: Header=BB73_80 Depth=1
	ds_load_2addr_b64 v[44:47], v42 offset1:1
	v_readfirstlane_b32 s2, v0
	v_readfirstlane_b32 s3, v1
	s_wait_dscnt 0x0
	global_store_b128 v57, v[44:47], s[2:3] scale_offset
	s_branch .LBB73_79
.LBB73_144:
	s_endpgm
	.section	.rodata,"a",@progbits
	.p2align	6, 0x0
	.amdhsa_kernel _ZN9rocsolver6v33100L10stedc_sortI19rocblas_complex_numIdEdPS3_S4_EEviPT0_lS6_lT1_iilT2_iil
		.amdhsa_group_segment_fixed_size 67584
		.amdhsa_private_segment_fixed_size 0
		.amdhsa_kernarg_size 344
		.amdhsa_user_sgpr_count 4
		.amdhsa_user_sgpr_dispatch_ptr 1
		.amdhsa_user_sgpr_queue_ptr 0
		.amdhsa_user_sgpr_kernarg_segment_ptr 1
		.amdhsa_user_sgpr_dispatch_id 0
		.amdhsa_user_sgpr_kernarg_preload_length 0
		.amdhsa_user_sgpr_kernarg_preload_offset 0
		.amdhsa_user_sgpr_private_segment_size 0
		.amdhsa_wavefront_size32 1
		.amdhsa_uses_dynamic_stack 0
		.amdhsa_enable_private_segment 0
		.amdhsa_system_sgpr_workgroup_id_x 1
		.amdhsa_system_sgpr_workgroup_id_y 1
		.amdhsa_system_sgpr_workgroup_id_z 0
		.amdhsa_system_sgpr_workgroup_info 0
		.amdhsa_system_vgpr_workitem_id 2
		.amdhsa_next_free_vgpr 62
		.amdhsa_next_free_sgpr 58
		.amdhsa_named_barrier_count 0
		.amdhsa_reserve_vcc 1
		.amdhsa_float_round_mode_32 0
		.amdhsa_float_round_mode_16_64 0
		.amdhsa_float_denorm_mode_32 3
		.amdhsa_float_denorm_mode_16_64 3
		.amdhsa_fp16_overflow 0
		.amdhsa_memory_ordered 1
		.amdhsa_forward_progress 1
		.amdhsa_inst_pref_size 41
		.amdhsa_round_robin_scheduling 0
		.amdhsa_exception_fp_ieee_invalid_op 0
		.amdhsa_exception_fp_denorm_src 0
		.amdhsa_exception_fp_ieee_div_zero 0
		.amdhsa_exception_fp_ieee_overflow 0
		.amdhsa_exception_fp_ieee_underflow 0
		.amdhsa_exception_fp_ieee_inexact 0
		.amdhsa_exception_int_div_zero 0
	.end_amdhsa_kernel
	.section	.text._ZN9rocsolver6v33100L10stedc_sortI19rocblas_complex_numIdEdPS3_S4_EEviPT0_lS6_lT1_iilT2_iil,"axG",@progbits,_ZN9rocsolver6v33100L10stedc_sortI19rocblas_complex_numIdEdPS3_S4_EEviPT0_lS6_lT1_iilT2_iil,comdat
.Lfunc_end73:
	.size	_ZN9rocsolver6v33100L10stedc_sortI19rocblas_complex_numIdEdPS3_S4_EEviPT0_lS6_lT1_iilT2_iil, .Lfunc_end73-_ZN9rocsolver6v33100L10stedc_sortI19rocblas_complex_numIdEdPS3_S4_EEviPT0_lS6_lT1_iilT2_iil
                                        ; -- End function
	.set _ZN9rocsolver6v33100L10stedc_sortI19rocblas_complex_numIdEdPS3_S4_EEviPT0_lS6_lT1_iilT2_iil.num_vgpr, 62
	.set _ZN9rocsolver6v33100L10stedc_sortI19rocblas_complex_numIdEdPS3_S4_EEviPT0_lS6_lT1_iilT2_iil.num_agpr, 0
	.set _ZN9rocsolver6v33100L10stedc_sortI19rocblas_complex_numIdEdPS3_S4_EEviPT0_lS6_lT1_iilT2_iil.numbered_sgpr, 58
	.set _ZN9rocsolver6v33100L10stedc_sortI19rocblas_complex_numIdEdPS3_S4_EEviPT0_lS6_lT1_iilT2_iil.num_named_barrier, 0
	.set _ZN9rocsolver6v33100L10stedc_sortI19rocblas_complex_numIdEdPS3_S4_EEviPT0_lS6_lT1_iilT2_iil.private_seg_size, 0
	.set _ZN9rocsolver6v33100L10stedc_sortI19rocblas_complex_numIdEdPS3_S4_EEviPT0_lS6_lT1_iilT2_iil.uses_vcc, 1
	.set _ZN9rocsolver6v33100L10stedc_sortI19rocblas_complex_numIdEdPS3_S4_EEviPT0_lS6_lT1_iilT2_iil.uses_flat_scratch, 0
	.set _ZN9rocsolver6v33100L10stedc_sortI19rocblas_complex_numIdEdPS3_S4_EEviPT0_lS6_lT1_iilT2_iil.has_dyn_sized_stack, 0
	.set _ZN9rocsolver6v33100L10stedc_sortI19rocblas_complex_numIdEdPS3_S4_EEviPT0_lS6_lT1_iilT2_iil.has_recursion, 0
	.set _ZN9rocsolver6v33100L10stedc_sortI19rocblas_complex_numIdEdPS3_S4_EEviPT0_lS6_lT1_iilT2_iil.has_indirect_call, 0
	.section	.AMDGPU.csdata,"",@progbits
; Kernel info:
; codeLenInByte = 5160
; TotalNumSgprs: 60
; NumVgprs: 62
; ScratchSize: 0
; MemoryBound: 1
; FloatMode: 240
; IeeeMode: 1
; LDSByteSize: 67584 bytes/workgroup (compile time only)
; SGPRBlocks: 0
; VGPRBlocks: 3
; NumSGPRsForWavesPerEU: 60
; NumVGPRsForWavesPerEU: 62
; NamedBarCnt: 0
; Occupancy: 16
; WaveLimiterHint : 0
; COMPUTE_PGM_RSRC2:SCRATCH_EN: 0
; COMPUTE_PGM_RSRC2:USER_SGPR: 4
; COMPUTE_PGM_RSRC2:TRAP_HANDLER: 0
; COMPUTE_PGM_RSRC2:TGID_X_EN: 1
; COMPUTE_PGM_RSRC2:TGID_Y_EN: 1
; COMPUTE_PGM_RSRC2:TGID_Z_EN: 0
; COMPUTE_PGM_RSRC2:TIDIG_COMP_CNT: 2
	.text
	.p2alignl 7, 3214868480
	.fill 96, 4, 3214868480
	.section	.AMDGPU.gpr_maximums,"",@progbits
	.set amdgpu.max_num_vgpr, 120
	.set amdgpu.max_num_agpr, 0
	.set amdgpu.max_num_sgpr, 33
	.text
	.type	__hip_cuid_e1ff24d9e8bc196b,@object ; @__hip_cuid_e1ff24d9e8bc196b
	.section	.bss,"aw",@nobits
	.globl	__hip_cuid_e1ff24d9e8bc196b
__hip_cuid_e1ff24d9e8bc196b:
	.byte	0                               ; 0x0
	.size	__hip_cuid_e1ff24d9e8bc196b, 1

	.type	llvm.amdgcn.lds.offset.table,@object ; @llvm.amdgcn.lds.offset.table
	.section	.data.rel.ro,"aw",@progbits
	.p2align	4, 0x0
llvm.amdgcn.lds.offset.table:
	.long	0+16
	.long	0+20
	.long	0
	.long	0+24
	.long	0+28
	;; [unrolled: 1-line block ×8, first 2 shown]
	.long	0
	.long	0+24
	.long	0+28
	;; [unrolled: 1-line block ×6, first 2 shown]
	.size	llvm.amdgcn.lds.offset.table, 72

	.ident	"AMD clang version 22.0.0git (https://github.com/RadeonOpenCompute/llvm-project roc-7.2.4 26084 f58b06dce1f9c15707c5f808fd002e18c2accf7e)"
	.section	".note.GNU-stack","",@progbits
	.addrsig
	.addrsig_sym __hip_cuid_e1ff24d9e8bc196b
	.amdgpu_metadata
---
amdhsa.kernels:
  - .args:
      - .offset:         0
        .size:           4
        .value_kind:     by_value
      - .offset:         4
        .size:           4
        .value_kind:     by_value
      - .offset:         8
        .size:           4
        .value_kind:     by_value
      - .address_space:  global
        .offset:         16
        .size:           8
        .value_kind:     global_buffer
      - .offset:         24
        .size:           4
        .value_kind:     hidden_block_count_x
      - .offset:         28
        .size:           4
        .value_kind:     hidden_block_count_y
      - .offset:         32
        .size:           4
        .value_kind:     hidden_block_count_z
      - .offset:         36
        .size:           2
        .value_kind:     hidden_group_size_x
      - .offset:         38
        .size:           2
        .value_kind:     hidden_group_size_y
      - .offset:         40
        .size:           2
        .value_kind:     hidden_group_size_z
      - .offset:         42
        .size:           2
        .value_kind:     hidden_remainder_x
      - .offset:         44
        .size:           2
        .value_kind:     hidden_remainder_y
      - .offset:         46
        .size:           2
        .value_kind:     hidden_remainder_z
      - .offset:         64
        .size:           8
        .value_kind:     hidden_global_offset_x
      - .offset:         72
        .size:           8
        .value_kind:     hidden_global_offset_y
      - .offset:         80
        .size:           8
        .value_kind:     hidden_global_offset_z
      - .offset:         88
        .size:           2
        .value_kind:     hidden_grid_dims
    .group_segment_fixed_size: 0
    .kernarg_segment_align: 8
    .kernarg_segment_size: 280
    .language:       OpenCL C
    .language_version:
      - 2
      - 0
    .max_flat_workgroup_size: 512
    .name:           _ZN9rocsolver6v33100L19stedc_update_splitsEiiiPi
    .private_segment_fixed_size: 0
    .sgpr_count:     28
    .sgpr_spill_count: 0
    .symbol:         _ZN9rocsolver6v33100L19stedc_update_splitsEiiiPi.kd
    .uniform_work_group_size: 1
    .uses_dynamic_stack: false
    .vgpr_count:     12
    .vgpr_spill_count: 0
    .wavefront_size: 32
  - .args:
      - .address_space:  global
        .offset:         0
        .size:           8
        .value_kind:     global_buffer
      - .offset:         8
        .size:           4
        .value_kind:     by_value
      - .offset:         12
        .size:           4
        .value_kind:     by_value
      - .offset:         16
        .size:           4
        .value_kind:     by_value
      - .offset:         24
        .size:           4
        .value_kind:     hidden_block_count_x
      - .offset:         28
        .size:           4
        .value_kind:     hidden_block_count_y
      - .offset:         32
        .size:           4
        .value_kind:     hidden_block_count_z
      - .offset:         36
        .size:           2
        .value_kind:     hidden_group_size_x
      - .offset:         38
        .size:           2
        .value_kind:     hidden_group_size_y
      - .offset:         40
        .size:           2
        .value_kind:     hidden_group_size_z
      - .offset:         42
        .size:           2
        .value_kind:     hidden_remainder_x
      - .offset:         44
        .size:           2
        .value_kind:     hidden_remainder_y
      - .offset:         46
        .size:           2
        .value_kind:     hidden_remainder_z
      - .offset:         64
        .size:           8
        .value_kind:     hidden_global_offset_x
      - .offset:         72
        .size:           8
        .value_kind:     hidden_global_offset_y
      - .offset:         80
        .size:           8
        .value_kind:     hidden_global_offset_z
      - .offset:         88
        .size:           2
        .value_kind:     hidden_grid_dims
    .group_segment_fixed_size: 0
    .kernarg_segment_align: 8
    .kernarg_segment_size: 280
    .language:       OpenCL C
    .language_version:
      - 2
      - 0
    .max_flat_workgroup_size: 1024
    .name:           _ZN9rocsolver6v33100L10reset_infoIiiiEEvPT_T0_T1_S4_
    .private_segment_fixed_size: 0
    .sgpr_count:     9
    .sgpr_spill_count: 0
    .symbol:         _ZN9rocsolver6v33100L10reset_infoIiiiEEvPT_T0_T1_S4_.kd
    .uniform_work_group_size: 1
    .uses_dynamic_stack: false
    .vgpr_count:     2
    .vgpr_spill_count: 0
    .wavefront_size: 32
  - .args:
      - .address_space:  global
        .offset:         0
        .size:           8
        .value_kind:     global_buffer
      - .offset:         8
        .size:           8
        .value_kind:     by_value
      - .offset:         16
        .size:           4
        .value_kind:     by_value
      - .offset:         20
        .size:           4
        .value_kind:     by_value
      - .offset:         24
        .size:           4
        .value_kind:     hidden_block_count_x
      - .offset:         28
        .size:           4
        .value_kind:     hidden_block_count_y
      - .offset:         32
        .size:           4
        .value_kind:     hidden_block_count_z
      - .offset:         36
        .size:           2
        .value_kind:     hidden_group_size_x
      - .offset:         38
        .size:           2
        .value_kind:     hidden_group_size_y
      - .offset:         40
        .size:           2
        .value_kind:     hidden_group_size_z
      - .offset:         42
        .size:           2
        .value_kind:     hidden_remainder_x
      - .offset:         44
        .size:           2
        .value_kind:     hidden_remainder_y
      - .offset:         46
        .size:           2
        .value_kind:     hidden_remainder_z
      - .offset:         64
        .size:           8
        .value_kind:     hidden_global_offset_x
      - .offset:         72
        .size:           8
        .value_kind:     hidden_global_offset_y
      - .offset:         80
        .size:           8
        .value_kind:     hidden_global_offset_z
      - .offset:         88
        .size:           2
        .value_kind:     hidden_grid_dims
    .group_segment_fixed_size: 0
    .kernarg_segment_align: 8
    .kernarg_segment_size: 280
    .language:       OpenCL C
    .language_version:
      - 2
      - 0
    .max_flat_workgroup_size: 1024
    .name:           _ZN9rocsolver6v33100L16reset_batch_infoIfiiPfEEvT2_lT0_T1_
    .private_segment_fixed_size: 0
    .sgpr_count:     14
    .sgpr_spill_count: 0
    .symbol:         _ZN9rocsolver6v33100L16reset_batch_infoIfiiPfEEvT2_lT0_T1_.kd
    .uniform_work_group_size: 1
    .uses_dynamic_stack: false
    .vgpr_count:     2
    .vgpr_spill_count: 0
    .wavefront_size: 32
  - .args:
      - .offset:         0
        .size:           4
        .value_kind:     by_value
      - .address_space:  global
        .offset:         8
        .size:           8
        .value_kind:     global_buffer
      - .offset:         16
        .size:           8
        .value_kind:     by_value
      - .address_space:  global
        .offset:         24
        .size:           8
        .value_kind:     global_buffer
      - .offset:         32
        .size:           8
        .value_kind:     by_value
      - .address_space:  global
        .offset:         40
        .size:           8
        .value_kind:     global_buffer
      - .address_space:  global
        .offset:         48
        .size:           8
        .value_kind:     global_buffer
      - .offset:         56
        .size:           4
        .value_kind:     by_value
      - .offset:         60
        .size:           4
        .value_kind:     by_value
      - .offset:         64
        .size:           4
        .value_kind:     by_value
      - .offset:         68
        .size:           4
        .value_kind:     by_value
    .group_segment_fixed_size: 0
    .kernarg_segment_align: 8
    .kernarg_segment_size: 72
    .language:       OpenCL C
    .language_version:
      - 2
      - 0
    .max_flat_workgroup_size: 1024
    .name:           _ZN9rocsolver6v33100L12sterf_kernelIfEEviPT_lS3_lPiS4_iS2_S2_S2_
    .private_segment_fixed_size: 0
    .sgpr_count:     62
    .sgpr_spill_count: 0
    .symbol:         _ZN9rocsolver6v33100L12sterf_kernelIfEEviPT_lS3_lPiS4_iS2_S2_S2_.kd
    .uniform_work_group_size: 1
    .uses_dynamic_stack: false
    .vgpr_count:     30
    .vgpr_spill_count: 0
    .wavefront_size: 32
  - .args:
      - .offset:         0
        .size:           4
        .value_kind:     by_value
      - .offset:         4
        .size:           4
        .value_kind:     by_value
      - .offset:         8
        .size:           4
        .value_kind:     by_value
      - .offset:         12
        .size:           4
        .value_kind:     by_value
      - .offset:         16
        .size:           4
        .value_kind:     by_value
      - .address_space:  global
        .offset:         24
        .size:           8
        .value_kind:     global_buffer
      - .offset:         32
        .size:           8
        .value_kind:     by_value
      - .address_space:  global
        .offset:         40
        .size:           8
        .value_kind:     global_buffer
      - .offset:         48
        .size:           8
        .value_kind:     by_value
      - .address_space:  global
        .offset:         56
        .size:           8
        .value_kind:     global_buffer
      - .offset:         64
        .size:           8
        .value_kind:     by_value
      - .offset:         72
        .size:           4
        .value_kind:     by_value
      - .offset:         80
        .size:           8
        .value_kind:     by_value
      - .offset:         88
        .size:           4
        .value_kind:     by_value
      - .offset:         96
        .size:           4
        .value_kind:     hidden_block_count_x
      - .offset:         100
        .size:           4
        .value_kind:     hidden_block_count_y
      - .offset:         104
        .size:           4
        .value_kind:     hidden_block_count_z
      - .offset:         108
        .size:           2
        .value_kind:     hidden_group_size_x
      - .offset:         110
        .size:           2
        .value_kind:     hidden_group_size_y
      - .offset:         112
        .size:           2
        .value_kind:     hidden_group_size_z
      - .offset:         114
        .size:           2
        .value_kind:     hidden_remainder_x
      - .offset:         116
        .size:           2
        .value_kind:     hidden_remainder_y
      - .offset:         118
        .size:           2
        .value_kind:     hidden_remainder_z
      - .offset:         136
        .size:           8
        .value_kind:     hidden_global_offset_x
      - .offset:         144
        .size:           8
        .value_kind:     hidden_global_offset_y
      - .offset:         152
        .size:           8
        .value_kind:     hidden_global_offset_z
      - .offset:         160
        .size:           2
        .value_kind:     hidden_grid_dims
    .group_segment_fixed_size: 0
    .kernarg_segment_align: 8
    .kernarg_segment_size: 352
    .language:       OpenCL C
    .language_version:
      - 2
      - 0
    .max_flat_workgroup_size: 64
    .name:           _ZN9rocsolver6v33100L11lasr_kernelIffPfiEEv13rocblas_side_14rocblas_pivot_15rocblas_direct_T2_S6_PT0_lS8_lT1_lS6_lS6_
    .private_segment_fixed_size: 0
    .sgpr_count:     93
    .sgpr_spill_count: 0
    .symbol:         _ZN9rocsolver6v33100L11lasr_kernelIffPfiEEv13rocblas_side_14rocblas_pivot_15rocblas_direct_T2_S6_PT0_lS8_lT1_lS6_lS6_.kd
    .uniform_work_group_size: 1
    .uses_dynamic_stack: false
    .vgpr_count:     42
    .vgpr_spill_count: 0
    .wavefront_size: 32
  - .args:
      - .offset:         0
        .size:           4
        .value_kind:     by_value
      - .address_space:  global
        .offset:         8
        .size:           8
        .value_kind:     global_buffer
      - .offset:         16
        .size:           4
        .value_kind:     by_value
      - .address_space:  global
        .offset:         24
        .size:           8
        .value_kind:     global_buffer
      - .offset:         32
        .size:           4
        .value_kind:     by_value
      - .offset:         40
        .size:           4
        .value_kind:     hidden_block_count_x
      - .offset:         44
        .size:           4
        .value_kind:     hidden_block_count_y
      - .offset:         48
        .size:           4
        .value_kind:     hidden_block_count_z
      - .offset:         52
        .size:           2
        .value_kind:     hidden_group_size_x
      - .offset:         54
        .size:           2
        .value_kind:     hidden_group_size_y
      - .offset:         56
        .size:           2
        .value_kind:     hidden_group_size_z
      - .offset:         58
        .size:           2
        .value_kind:     hidden_remainder_x
      - .offset:         60
        .size:           2
        .value_kind:     hidden_remainder_y
      - .offset:         62
        .size:           2
        .value_kind:     hidden_remainder_z
      - .offset:         80
        .size:           8
        .value_kind:     hidden_global_offset_x
      - .offset:         88
        .size:           8
        .value_kind:     hidden_global_offset_y
      - .offset:         96
        .size:           8
        .value_kind:     hidden_global_offset_z
      - .offset:         104
        .size:           2
        .value_kind:     hidden_grid_dims
    .group_segment_fixed_size: 0
    .kernarg_segment_align: 8
    .kernarg_segment_size: 296
    .language:       OpenCL C
    .language_version:
      - 2
      - 0
    .max_flat_workgroup_size: 1024
    .name:           _ZN9rocsolver6v33100L11swap_kernelIfiEEvT0_PT_S2_S4_S2_
    .private_segment_fixed_size: 0
    .sgpr_count:     18
    .sgpr_spill_count: 0
    .symbol:         _ZN9rocsolver6v33100L11swap_kernelIfiEEvT0_PT_S2_S4_S2_.kd
    .uniform_work_group_size: 1
    .uses_dynamic_stack: false
    .vgpr_count:     9
    .vgpr_spill_count: 0
    .wavefront_size: 32
  - .args:
      - .offset:         0
        .size:           4
        .value_kind:     by_value
      - .address_space:  global
        .offset:         8
        .size:           8
        .value_kind:     global_buffer
      - .offset:         16
        .size:           8
        .value_kind:     by_value
      - .address_space:  global
        .offset:         24
        .size:           8
        .value_kind:     global_buffer
      - .offset:         32
        .size:           8
        .value_kind:     by_value
      - .address_space:  global
        .offset:         40
        .size:           8
        .value_kind:     global_buffer
      - .offset:         48
        .size:           4
        .value_kind:     by_value
      - .offset:         52
        .size:           4
        .value_kind:     by_value
      - .offset:         56
        .size:           8
        .value_kind:     by_value
      - .address_space:  global
        .offset:         64
        .size:           8
        .value_kind:     global_buffer
      - .address_space:  global
        .offset:         72
        .size:           8
        .value_kind:     global_buffer
      - .offset:         80
        .size:           4
        .value_kind:     by_value
      - .offset:         84
        .size:           4
        .value_kind:     by_value
      - .offset:         88
        .size:           4
        .value_kind:     by_value
      - .offset:         92
        .size:           4
        .value_kind:     by_value
      - .offset:         96
        .size:           4
        .value_kind:     hidden_block_count_x
      - .offset:         100
        .size:           4
        .value_kind:     hidden_block_count_y
      - .offset:         104
        .size:           4
        .value_kind:     hidden_block_count_z
      - .offset:         108
        .size:           2
        .value_kind:     hidden_group_size_x
      - .offset:         110
        .size:           2
        .value_kind:     hidden_group_size_y
      - .offset:         112
        .size:           2
        .value_kind:     hidden_group_size_z
      - .offset:         114
        .size:           2
        .value_kind:     hidden_remainder_x
      - .offset:         116
        .size:           2
        .value_kind:     hidden_remainder_y
      - .offset:         118
        .size:           2
        .value_kind:     hidden_remainder_z
      - .offset:         136
        .size:           8
        .value_kind:     hidden_global_offset_x
      - .offset:         144
        .size:           8
        .value_kind:     hidden_global_offset_y
      - .offset:         152
        .size:           8
        .value_kind:     hidden_global_offset_z
      - .offset:         160
        .size:           2
        .value_kind:     hidden_grid_dims
    .group_segment_fixed_size: 36
    .kernarg_segment_align: 8
    .kernarg_segment_size: 352
    .language:       OpenCL C
    .language_version:
      - 2
      - 0
    .max_flat_workgroup_size: 1024
    .name:           _ZN9rocsolver6v33100L12steqr_kernelIffPfEEviPT0_lS4_lT1_iilPiS4_iS3_S3_S3_
    .private_segment_fixed_size: 120
    .sgpr_count:     35
    .sgpr_spill_count: 0
    .symbol:         _ZN9rocsolver6v33100L12steqr_kernelIffPfEEviPT0_lS4_lT1_iilPiS4_iS3_S3_S3_.kd
    .uniform_work_group_size: 1
    .uses_dynamic_stack: false
    .vgpr_count:     120
    .vgpr_spill_count: 0
    .wavefront_size: 32
  - .args:
      - .offset:         0
        .size:           4
        .value_kind:     by_value
      - .offset:         4
        .size:           4
        .value_kind:     by_value
      - .address_space:  global
        .offset:         8
        .size:           8
        .value_kind:     global_buffer
      - .offset:         16
        .size:           4
        .value_kind:     by_value
      - .offset:         20
        .size:           4
        .value_kind:     by_value
      - .offset:         24
        .size:           8
        .value_kind:     by_value
      - .offset:         32
        .size:           4
        .value_kind:     hidden_block_count_x
      - .offset:         36
        .size:           4
        .value_kind:     hidden_block_count_y
      - .offset:         40
        .size:           4
        .value_kind:     hidden_block_count_z
      - .offset:         44
        .size:           2
        .value_kind:     hidden_group_size_x
      - .offset:         46
        .size:           2
        .value_kind:     hidden_group_size_y
      - .offset:         48
        .size:           2
        .value_kind:     hidden_group_size_z
      - .offset:         50
        .size:           2
        .value_kind:     hidden_remainder_x
      - .offset:         52
        .size:           2
        .value_kind:     hidden_remainder_y
      - .offset:         54
        .size:           2
        .value_kind:     hidden_remainder_z
      - .offset:         72
        .size:           8
        .value_kind:     hidden_global_offset_x
      - .offset:         80
        .size:           8
        .value_kind:     hidden_global_offset_y
      - .offset:         88
        .size:           8
        .value_kind:     hidden_global_offset_z
      - .offset:         96
        .size:           2
        .value_kind:     hidden_grid_dims
    .group_segment_fixed_size: 0
    .kernarg_segment_align: 8
    .kernarg_segment_size: 288
    .language:       OpenCL C
    .language_version:
      - 2
      - 0
    .max_flat_workgroup_size: 1024
    .name:           _ZN9rocsolver6v33100L10init_identIfPfEEviiT0_iil
    .private_segment_fixed_size: 0
    .sgpr_count:     13
    .sgpr_spill_count: 0
    .symbol:         _ZN9rocsolver6v33100L10init_identIfPfEEviiT0_iil.kd
    .uniform_work_group_size: 1
    .uses_dynamic_stack: false
    .vgpr_count:     3
    .vgpr_spill_count: 0
    .wavefront_size: 32
  - .args:
      - .offset:         0
        .size:           4
        .value_kind:     by_value
      - .offset:         4
        .size:           4
        .value_kind:     by_value
      - .offset:         8
        .size:           4
        .value_kind:     by_value
      - .address_space:  global
        .offset:         16
        .size:           8
        .value_kind:     global_buffer
      - .offset:         24
        .size:           8
        .value_kind:     by_value
      - .address_space:  global
        .offset:         32
        .size:           8
        .value_kind:     global_buffer
      - .offset:         40
        .size:           8
        .value_kind:     by_value
      - .offset:         48
        .size:           4
        .value_kind:     by_value
      - .address_space:  global
        .offset:         56
        .size:           8
        .value_kind:     global_buffer
      - .offset:         64
        .size:           4
        .value_kind:     hidden_block_count_x
      - .offset:         68
        .size:           4
        .value_kind:     hidden_block_count_y
      - .offset:         72
        .size:           4
        .value_kind:     hidden_block_count_z
      - .offset:         76
        .size:           2
        .value_kind:     hidden_group_size_x
      - .offset:         78
        .size:           2
        .value_kind:     hidden_group_size_y
      - .offset:         80
        .size:           2
        .value_kind:     hidden_group_size_z
      - .offset:         82
        .size:           2
        .value_kind:     hidden_remainder_x
      - .offset:         84
        .size:           2
        .value_kind:     hidden_remainder_y
      - .offset:         86
        .size:           2
        .value_kind:     hidden_remainder_z
      - .offset:         104
        .size:           8
        .value_kind:     hidden_global_offset_x
      - .offset:         112
        .size:           8
        .value_kind:     hidden_global_offset_y
      - .offset:         120
        .size:           8
        .value_kind:     hidden_global_offset_z
      - .offset:         128
        .size:           2
        .value_kind:     hidden_grid_dims
    .group_segment_fixed_size: 0
    .kernarg_segment_align: 8
    .kernarg_segment_size: 320
    .language:       OpenCL C
    .language_version:
      - 2
      - 0
    .max_flat_workgroup_size: 512
    .name:           _ZN9rocsolver6v33100L19stedc_divide_kernelIfEEviiiPT_lS3_liPi
    .private_segment_fixed_size: 0
    .sgpr_count:     16
    .sgpr_spill_count: 0
    .symbol:         _ZN9rocsolver6v33100L19stedc_divide_kernelIfEEviiiPT_lS3_liPi.kd
    .uniform_work_group_size: 1
    .uses_dynamic_stack: false
    .vgpr_count:     14
    .vgpr_spill_count: 0
    .wavefront_size: 32
  - .args:
      - .offset:         0
        .size:           4
        .value_kind:     by_value
      - .offset:         4
        .size:           4
        .value_kind:     by_value
      - .address_space:  global
        .offset:         8
        .size:           8
        .value_kind:     global_buffer
      - .offset:         16
        .size:           8
        .value_kind:     by_value
      - .address_space:  global
        .offset:         24
        .size:           8
        .value_kind:     global_buffer
      - .offset:         32
        .size:           8
        .value_kind:     by_value
      - .address_space:  global
        .offset:         40
        .size:           8
        .value_kind:     global_buffer
      - .offset:         48
        .size:           4
        .value_kind:     by_value
      - .offset:         52
        .size:           4
        .value_kind:     by_value
      - .offset:         56
        .size:           8
        .value_kind:     by_value
      - .address_space:  global
        .offset:         64
        .size:           8
        .value_kind:     global_buffer
      - .address_space:  global
        .offset:         72
        .size:           8
        .value_kind:     global_buffer
      - .address_space:  global
        .offset:         80
        .size:           8
        .value_kind:     global_buffer
      - .offset:         88
        .size:           4
        .value_kind:     by_value
      - .offset:         92
        .size:           4
        .value_kind:     by_value
      - .offset:         96
        .size:           4
        .value_kind:     by_value
      - .offset:         104
        .size:           4
        .value_kind:     hidden_block_count_x
      - .offset:         108
        .size:           4
        .value_kind:     hidden_block_count_y
      - .offset:         112
        .size:           4
        .value_kind:     hidden_block_count_z
      - .offset:         116
        .size:           2
        .value_kind:     hidden_group_size_x
      - .offset:         118
        .size:           2
        .value_kind:     hidden_group_size_y
      - .offset:         120
        .size:           2
        .value_kind:     hidden_group_size_z
      - .offset:         122
        .size:           2
        .value_kind:     hidden_remainder_x
      - .offset:         124
        .size:           2
        .value_kind:     hidden_remainder_y
      - .offset:         126
        .size:           2
        .value_kind:     hidden_remainder_z
      - .offset:         144
        .size:           8
        .value_kind:     hidden_global_offset_x
      - .offset:         152
        .size:           8
        .value_kind:     hidden_global_offset_y
      - .offset:         160
        .size:           8
        .value_kind:     hidden_global_offset_z
      - .offset:         168
        .size:           2
        .value_kind:     hidden_grid_dims
    .group_segment_fixed_size: 36
    .kernarg_segment_align: 8
    .kernarg_segment_size: 360
    .language:       OpenCL C
    .language_version:
      - 2
      - 0
    .max_flat_workgroup_size: 512
    .name:           _ZN9rocsolver6v33100L18stedc_solve_kernelIfEEviiPT_lS3_lS3_iilPiS3_S4_S2_S2_S2_
    .private_segment_fixed_size: 120
    .sgpr_count:     38
    .sgpr_spill_count: 0
    .symbol:         _ZN9rocsolver6v33100L18stedc_solve_kernelIfEEviiPT_lS3_lS3_iilPiS3_S4_S2_S2_S2_.kd
    .uniform_work_group_size: 1
    .uses_dynamic_stack: false
    .vgpr_count:     120
    .vgpr_spill_count: 0
    .wavefront_size: 32
  - .args:
      - .offset:         0
        .size:           4
        .value_kind:     by_value
      - .offset:         4
        .size:           4
        .value_kind:     by_value
      - .address_space:  global
        .offset:         8
        .size:           8
        .value_kind:     global_buffer
      - .offset:         16
        .size:           8
        .value_kind:     by_value
      - .address_space:  global
        .offset:         24
        .size:           8
        .value_kind:     global_buffer
      - .offset:         32
        .size:           8
        .value_kind:     by_value
      - .address_space:  global
        .offset:         40
        .size:           8
        .value_kind:     global_buffer
      - .offset:         48
        .size:           4
        .value_kind:     by_value
      - .offset:         52
        .size:           4
        .value_kind:     by_value
      - .offset:         56
        .size:           8
        .value_kind:     by_value
      - .address_space:  global
        .offset:         64
        .size:           8
        .value_kind:     global_buffer
      - .address_space:  global
        .offset:         72
        .size:           8
        .value_kind:     global_buffer
      - .offset:         80
        .size:           4
        .value_kind:     by_value
      - .offset:         88
        .size:           4
        .value_kind:     hidden_block_count_x
      - .offset:         92
        .size:           4
        .value_kind:     hidden_block_count_y
      - .offset:         96
        .size:           4
        .value_kind:     hidden_block_count_z
      - .offset:         100
        .size:           2
        .value_kind:     hidden_group_size_x
      - .offset:         102
        .size:           2
        .value_kind:     hidden_group_size_y
      - .offset:         104
        .size:           2
        .value_kind:     hidden_group_size_z
      - .offset:         106
        .size:           2
        .value_kind:     hidden_remainder_x
      - .offset:         108
        .size:           2
        .value_kind:     hidden_remainder_y
      - .offset:         110
        .size:           2
        .value_kind:     hidden_remainder_z
      - .offset:         128
        .size:           8
        .value_kind:     hidden_global_offset_x
      - .offset:         136
        .size:           8
        .value_kind:     hidden_global_offset_y
      - .offset:         144
        .size:           8
        .value_kind:     hidden_global_offset_z
      - .offset:         152
        .size:           2
        .value_kind:     hidden_grid_dims
    .group_segment_fixed_size: 4096
    .kernarg_segment_align: 8
    .kernarg_segment_size: 344
    .language:       OpenCL C
    .language_version:
      - 2
      - 0
    .max_flat_workgroup_size: 512
    .name:           _ZN9rocsolver6v33100L37stedc_mergePrepare_DeflateZero_kernelIfEEviiPT_lS3_lS3_iilS3_PiS2_
    .private_segment_fixed_size: 0
    .sgpr_count:     40
    .sgpr_spill_count: 0
    .symbol:         _ZN9rocsolver6v33100L37stedc_mergePrepare_DeflateZero_kernelIfEEviiPT_lS3_lS3_iilS3_PiS2_.kd
    .uniform_work_group_size: 1
    .uses_dynamic_stack: false
    .vgpr_count:     16
    .vgpr_spill_count: 0
    .wavefront_size: 32
  - .args:
      - .offset:         0
        .size:           4
        .value_kind:     by_value
      - .offset:         4
        .size:           4
        .value_kind:     by_value
      - .address_space:  global
        .offset:         8
        .size:           8
        .value_kind:     global_buffer
      - .offset:         16
        .size:           8
        .value_kind:     by_value
      - .address_space:  global
        .offset:         24
        .size:           8
        .value_kind:     global_buffer
      - .address_space:  global
        .offset:         32
        .size:           8
        .value_kind:     global_buffer
      - .offset:         40
        .size:           4
        .value_kind:     hidden_block_count_x
      - .offset:         44
        .size:           4
        .value_kind:     hidden_block_count_y
      - .offset:         48
        .size:           4
        .value_kind:     hidden_block_count_z
      - .offset:         52
        .size:           2
        .value_kind:     hidden_group_size_x
      - .offset:         54
        .size:           2
        .value_kind:     hidden_group_size_y
      - .offset:         56
        .size:           2
        .value_kind:     hidden_group_size_z
      - .offset:         58
        .size:           2
        .value_kind:     hidden_remainder_x
      - .offset:         60
        .size:           2
        .value_kind:     hidden_remainder_y
      - .offset:         62
        .size:           2
        .value_kind:     hidden_remainder_z
      - .offset:         80
        .size:           8
        .value_kind:     hidden_global_offset_x
      - .offset:         88
        .size:           8
        .value_kind:     hidden_global_offset_y
      - .offset:         96
        .size:           8
        .value_kind:     hidden_global_offset_z
      - .offset:         104
        .size:           2
        .value_kind:     hidden_grid_dims
    .group_segment_fixed_size: 4096
    .kernarg_segment_align: 8
    .kernarg_segment_size: 296
    .language:       OpenCL C
    .language_version:
      - 2
      - 0
    .max_flat_workgroup_size: 512
    .name:           _ZN9rocsolver6v33100L31stedc_mergePrepare_SortD_kernelIfEEviiPT_lS3_Pi
    .private_segment_fixed_size: 0
    .sgpr_count:     44
    .sgpr_spill_count: 0
    .symbol:         _ZN9rocsolver6v33100L31stedc_mergePrepare_SortD_kernelIfEEviiPT_lS3_Pi.kd
    .uniform_work_group_size: 1
    .uses_dynamic_stack: false
    .vgpr_count:     30
    .vgpr_spill_count: 0
    .wavefront_size: 32
  - .args:
      - .offset:         0
        .size:           4
        .value_kind:     by_value
      - .offset:         4
        .size:           4
        .value_kind:     by_value
      - .address_space:  global
        .offset:         8
        .size:           8
        .value_kind:     global_buffer
      - .offset:         16
        .size:           8
        .value_kind:     by_value
      - .address_space:  global
        .offset:         24
        .size:           8
        .value_kind:     global_buffer
      - .address_space:  global
        .offset:         32
        .size:           8
        .value_kind:     global_buffer
      - .offset:         40
        .size:           4
        .value_kind:     hidden_block_count_x
      - .offset:         44
        .size:           4
        .value_kind:     hidden_block_count_y
      - .offset:         48
        .size:           4
        .value_kind:     hidden_block_count_z
      - .offset:         52
        .size:           2
        .value_kind:     hidden_group_size_x
      - .offset:         54
        .size:           2
        .value_kind:     hidden_group_size_y
      - .offset:         56
        .size:           2
        .value_kind:     hidden_group_size_z
      - .offset:         58
        .size:           2
        .value_kind:     hidden_remainder_x
      - .offset:         60
        .size:           2
        .value_kind:     hidden_remainder_y
      - .offset:         62
        .size:           2
        .value_kind:     hidden_remainder_z
      - .offset:         80
        .size:           8
        .value_kind:     hidden_global_offset_x
      - .offset:         88
        .size:           8
        .value_kind:     hidden_global_offset_y
      - .offset:         96
        .size:           8
        .value_kind:     hidden_global_offset_z
      - .offset:         104
        .size:           2
        .value_kind:     hidden_grid_dims
    .group_segment_fixed_size: 0
    .kernarg_segment_align: 8
    .kernarg_segment_size: 296
    .language:       OpenCL C
    .language_version:
      - 2
      - 0
    .max_flat_workgroup_size: 512
    .name:           _ZN9rocsolver6v33100L38stedc_mergePrepare_SetCandFlags_kernelIfEEviiPT_lS3_Pi
    .private_segment_fixed_size: 0
    .sgpr_count:     18
    .sgpr_spill_count: 0
    .symbol:         _ZN9rocsolver6v33100L38stedc_mergePrepare_SetCandFlags_kernelIfEEviiPT_lS3_Pi.kd
    .uniform_work_group_size: 1
    .uses_dynamic_stack: false
    .vgpr_count:     12
    .vgpr_spill_count: 0
    .wavefront_size: 32
  - .args:
      - .offset:         0
        .size:           4
        .value_kind:     by_value
      - .offset:         4
        .size:           4
        .value_kind:     by_value
      - .address_space:  global
        .offset:         8
        .size:           8
        .value_kind:     global_buffer
      - .offset:         16
        .size:           8
        .value_kind:     by_value
      - .address_space:  global
        .offset:         24
        .size:           8
        .value_kind:     global_buffer
      - .address_space:  global
        .offset:         32
        .size:           8
        .value_kind:     global_buffer
      - .offset:         40
        .size:           4
        .value_kind:     hidden_block_count_x
      - .offset:         44
        .size:           4
        .value_kind:     hidden_block_count_y
      - .offset:         48
        .size:           4
        .value_kind:     hidden_block_count_z
      - .offset:         52
        .size:           2
        .value_kind:     hidden_group_size_x
      - .offset:         54
        .size:           2
        .value_kind:     hidden_group_size_y
      - .offset:         56
        .size:           2
        .value_kind:     hidden_group_size_z
      - .offset:         58
        .size:           2
        .value_kind:     hidden_remainder_x
      - .offset:         60
        .size:           2
        .value_kind:     hidden_remainder_y
      - .offset:         62
        .size:           2
        .value_kind:     hidden_remainder_z
      - .offset:         80
        .size:           8
        .value_kind:     hidden_global_offset_x
      - .offset:         88
        .size:           8
        .value_kind:     hidden_global_offset_y
      - .offset:         96
        .size:           8
        .value_kind:     hidden_global_offset_z
      - .offset:         104
        .size:           2
        .value_kind:     hidden_grid_dims
    .group_segment_fixed_size: 32768
    .kernarg_segment_align: 8
    .kernarg_segment_size: 296
    .language:       OpenCL C
    .language_version:
      - 2
      - 0
    .max_flat_workgroup_size: 512
    .name:           _ZN9rocsolver6v33100L38stedc_mergePrepare_DeflateCount_kernelIfEEviiPT_lS3_Pi
    .private_segment_fixed_size: 0
    .sgpr_count:     30
    .sgpr_spill_count: 0
    .symbol:         _ZN9rocsolver6v33100L38stedc_mergePrepare_DeflateCount_kernelIfEEviiPT_lS3_Pi.kd
    .uniform_work_group_size: 1
    .uses_dynamic_stack: false
    .vgpr_count:     18
    .vgpr_spill_count: 0
    .wavefront_size: 32
  - .args:
      - .offset:         0
        .size:           4
        .value_kind:     by_value
      - .offset:         4
        .size:           4
        .value_kind:     by_value
      - .address_space:  global
        .offset:         8
        .size:           8
        .value_kind:     global_buffer
      - .offset:         16
        .size:           8
        .value_kind:     by_value
      - .address_space:  global
        .offset:         24
        .size:           8
        .value_kind:     global_buffer
      - .address_space:  global
        .offset:         32
        .size:           8
        .value_kind:     global_buffer
      - .offset:         40
        .size:           4
        .value_kind:     hidden_block_count_x
      - .offset:         44
        .size:           4
        .value_kind:     hidden_block_count_y
      - .offset:         48
        .size:           4
        .value_kind:     hidden_block_count_z
      - .offset:         52
        .size:           2
        .value_kind:     hidden_group_size_x
      - .offset:         54
        .size:           2
        .value_kind:     hidden_group_size_y
      - .offset:         56
        .size:           2
        .value_kind:     hidden_group_size_z
      - .offset:         58
        .size:           2
        .value_kind:     hidden_remainder_x
      - .offset:         60
        .size:           2
        .value_kind:     hidden_remainder_y
      - .offset:         62
        .size:           2
        .value_kind:     hidden_remainder_z
      - .offset:         80
        .size:           8
        .value_kind:     hidden_global_offset_x
      - .offset:         88
        .size:           8
        .value_kind:     hidden_global_offset_y
      - .offset:         96
        .size:           8
        .value_kind:     hidden_global_offset_z
      - .offset:         104
        .size:           2
        .value_kind:     hidden_grid_dims
    .group_segment_fixed_size: 32768
    .kernarg_segment_align: 8
    .kernarg_segment_size: 296
    .language:       OpenCL C
    .language_version:
      - 2
      - 0
    .max_flat_workgroup_size: 512
    .name:           _ZN9rocsolver6v33100L38stedc_mergePrepare_DeflateApply_kernelIfEEviiPT_lS3_Pi
    .private_segment_fixed_size: 0
    .sgpr_count:     26
    .sgpr_spill_count: 0
    .symbol:         _ZN9rocsolver6v33100L38stedc_mergePrepare_DeflateApply_kernelIfEEviiPT_lS3_Pi.kd
    .uniform_work_group_size: 1
    .uses_dynamic_stack: false
    .vgpr_count:     18
    .vgpr_spill_count: 0
    .wavefront_size: 32
  - .args:
      - .offset:         0
        .size:           4
        .value_kind:     by_value
      - .offset:         4
        .size:           4
        .value_kind:     by_value
      - .address_space:  global
        .offset:         8
        .size:           8
        .value_kind:     global_buffer
      - .offset:         16
        .size:           4
        .value_kind:     by_value
      - .offset:         20
        .size:           4
        .value_kind:     by_value
      - .offset:         24
        .size:           8
        .value_kind:     by_value
      - .address_space:  global
        .offset:         32
        .size:           8
        .value_kind:     global_buffer
      - .address_space:  global
        .offset:         40
        .size:           8
        .value_kind:     global_buffer
      - .offset:         48
        .size:           4
        .value_kind:     hidden_block_count_x
      - .offset:         52
        .size:           4
        .value_kind:     hidden_block_count_y
      - .offset:         56
        .size:           4
        .value_kind:     hidden_block_count_z
      - .offset:         60
        .size:           2
        .value_kind:     hidden_group_size_x
      - .offset:         62
        .size:           2
        .value_kind:     hidden_group_size_y
      - .offset:         64
        .size:           2
        .value_kind:     hidden_group_size_z
      - .offset:         66
        .size:           2
        .value_kind:     hidden_remainder_x
      - .offset:         68
        .size:           2
        .value_kind:     hidden_remainder_y
      - .offset:         70
        .size:           2
        .value_kind:     hidden_remainder_z
      - .offset:         88
        .size:           8
        .value_kind:     hidden_global_offset_x
      - .offset:         96
        .size:           8
        .value_kind:     hidden_global_offset_y
      - .offset:         104
        .size:           8
        .value_kind:     hidden_global_offset_z
      - .offset:         112
        .size:           2
        .value_kind:     hidden_grid_dims
    .group_segment_fixed_size: 0
    .kernarg_segment_align: 8
    .kernarg_segment_size: 304
    .language:       OpenCL C
    .language_version:
      - 2
      - 0
    .max_flat_workgroup_size: 512
    .name:           _ZN9rocsolver6v33100L24stedc_mergeRotate_kernelIfEEviiPT_iilS3_Pi
    .private_segment_fixed_size: 0
    .sgpr_count:     43
    .sgpr_spill_count: 0
    .symbol:         _ZN9rocsolver6v33100L24stedc_mergeRotate_kernelIfEEviiPT_iilS3_Pi.kd
    .uniform_work_group_size: 1
    .uses_dynamic_stack: false
    .vgpr_count:     106
    .vgpr_spill_count: 0
    .wavefront_size: 32
  - .args:
      - .offset:         0
        .size:           4
        .value_kind:     by_value
      - .offset:         4
        .size:           4
        .value_kind:     by_value
      - .address_space:  global
        .offset:         8
        .size:           8
        .value_kind:     global_buffer
      - .offset:         16
        .size:           8
        .value_kind:     by_value
      - .address_space:  global
        .offset:         24
        .size:           8
        .value_kind:     global_buffer
      - .address_space:  global
        .offset:         32
        .size:           8
        .value_kind:     global_buffer
      - .offset:         40
        .size:           4
        .value_kind:     hidden_block_count_x
      - .offset:         44
        .size:           4
        .value_kind:     hidden_block_count_y
      - .offset:         48
        .size:           4
        .value_kind:     hidden_block_count_z
      - .offset:         52
        .size:           2
        .value_kind:     hidden_group_size_x
      - .offset:         54
        .size:           2
        .value_kind:     hidden_group_size_y
      - .offset:         56
        .size:           2
        .value_kind:     hidden_group_size_z
      - .offset:         58
        .size:           2
        .value_kind:     hidden_remainder_x
      - .offset:         60
        .size:           2
        .value_kind:     hidden_remainder_y
      - .offset:         62
        .size:           2
        .value_kind:     hidden_remainder_z
      - .offset:         80
        .size:           8
        .value_kind:     hidden_global_offset_x
      - .offset:         88
        .size:           8
        .value_kind:     hidden_global_offset_y
      - .offset:         96
        .size:           8
        .value_kind:     hidden_global_offset_z
      - .offset:         104
        .size:           2
        .value_kind:     hidden_grid_dims
    .group_segment_fixed_size: 4096
    .kernarg_segment_align: 8
    .kernarg_segment_size: 296
    .language:       OpenCL C
    .language_version:
      - 2
      - 0
    .max_flat_workgroup_size: 512
    .name:           _ZN9rocsolver6v33100L31stedc_mergeValues_SortDZ_kernelIfEEviiPT_lS3_Pi
    .private_segment_fixed_size: 0
    .sgpr_count:     53
    .sgpr_spill_count: 0
    .symbol:         _ZN9rocsolver6v33100L31stedc_mergeValues_SortDZ_kernelIfEEviiPT_lS3_Pi.kd
    .uniform_work_group_size: 1
    .uses_dynamic_stack: false
    .vgpr_count:     30
    .vgpr_spill_count: 0
    .wavefront_size: 32
  - .args:
      - .offset:         0
        .size:           4
        .value_kind:     by_value
      - .offset:         4
        .size:           4
        .value_kind:     by_value
      - .address_space:  global
        .offset:         8
        .size:           8
        .value_kind:     global_buffer
      - .offset:         16
        .size:           8
        .value_kind:     by_value
      - .address_space:  global
        .offset:         24
        .size:           8
        .value_kind:     global_buffer
      - .address_space:  global
        .offset:         32
        .size:           8
        .value_kind:     global_buffer
      - .address_space:  global
        .offset:         40
        .size:           8
        .value_kind:     global_buffer
      - .offset:         48
        .size:           4
        .value_kind:     hidden_block_count_x
      - .offset:         52
        .size:           4
        .value_kind:     hidden_block_count_y
      - .offset:         56
        .size:           4
        .value_kind:     hidden_block_count_z
      - .offset:         60
        .size:           2
        .value_kind:     hidden_group_size_x
      - .offset:         62
        .size:           2
        .value_kind:     hidden_group_size_y
      - .offset:         64
        .size:           2
        .value_kind:     hidden_group_size_z
      - .offset:         66
        .size:           2
        .value_kind:     hidden_remainder_x
      - .offset:         68
        .size:           2
        .value_kind:     hidden_remainder_y
      - .offset:         70
        .size:           2
        .value_kind:     hidden_remainder_z
      - .offset:         88
        .size:           8
        .value_kind:     hidden_global_offset_x
      - .offset:         96
        .size:           8
        .value_kind:     hidden_global_offset_y
      - .offset:         104
        .size:           8
        .value_kind:     hidden_global_offset_z
      - .offset:         112
        .size:           2
        .value_kind:     hidden_grid_dims
    .group_segment_fixed_size: 0
    .kernarg_segment_align: 8
    .kernarg_segment_size: 304
    .language:       OpenCL C
    .language_version:
      - 2
      - 0
    .max_flat_workgroup_size: 512
    .name:           _ZN9rocsolver6v33100L30stedc_mergeValues_copyD_kernelIfEEviiPT_lS3_S3_Pi
    .private_segment_fixed_size: 0
    .sgpr_count:     28
    .sgpr_spill_count: 0
    .symbol:         _ZN9rocsolver6v33100L30stedc_mergeValues_copyD_kernelIfEEviiPT_lS3_S3_Pi.kd
    .uniform_work_group_size: 1
    .uses_dynamic_stack: false
    .vgpr_count:     3
    .vgpr_spill_count: 0
    .wavefront_size: 32
  - .args:
      - .offset:         0
        .size:           4
        .value_kind:     by_value
      - .address_space:  global
        .offset:         8
        .size:           8
        .value_kind:     global_buffer
      - .offset:         16
        .size:           4
        .value_kind:     by_value
      - .offset:         20
        .size:           4
        .value_kind:     by_value
      - .offset:         24
        .size:           8
        .value_kind:     by_value
      - .address_space:  global
        .offset:         32
        .size:           8
        .value_kind:     global_buffer
      - .offset:         40
        .size:           4
        .value_kind:     by_value
      - .offset:         44
        .size:           4
        .value_kind:     by_value
      - .offset:         48
        .size:           8
        .value_kind:     by_value
      - .offset:         56
        .size:           4
        .value_kind:     hidden_block_count_x
      - .offset:         60
        .size:           4
        .value_kind:     hidden_block_count_y
      - .offset:         64
        .size:           4
        .value_kind:     hidden_block_count_z
      - .offset:         68
        .size:           2
        .value_kind:     hidden_group_size_x
      - .offset:         70
        .size:           2
        .value_kind:     hidden_group_size_y
      - .offset:         72
        .size:           2
        .value_kind:     hidden_group_size_z
      - .offset:         74
        .size:           2
        .value_kind:     hidden_remainder_x
      - .offset:         76
        .size:           2
        .value_kind:     hidden_remainder_y
      - .offset:         78
        .size:           2
        .value_kind:     hidden_remainder_z
      - .offset:         96
        .size:           8
        .value_kind:     hidden_global_offset_x
      - .offset:         104
        .size:           8
        .value_kind:     hidden_global_offset_y
      - .offset:         112
        .size:           8
        .value_kind:     hidden_global_offset_z
      - .offset:         120
        .size:           2
        .value_kind:     hidden_grid_dims
    .group_segment_fixed_size: 0
    .kernarg_segment_align: 8
    .kernarg_segment_size: 312
    .language:       OpenCL C
    .language_version:
      - 2
      - 0
    .max_flat_workgroup_size: 512
    .name:           _ZN9rocsolver6v33100L11stedc_copyCIfPfS2_EEviT0_iilT1_iil
    .private_segment_fixed_size: 0
    .sgpr_count:     41
    .sgpr_spill_count: 0
    .symbol:         _ZN9rocsolver6v33100L11stedc_copyCIfPfS2_EEviT0_iilT1_iil.kd
    .uniform_work_group_size: 1
    .uses_dynamic_stack: false
    .vgpr_count:     33
    .vgpr_spill_count: 0
    .wavefront_size: 32
  - .args:
      - .offset:         0
        .size:           4
        .value_kind:     by_value
      - .address_space:  global
        .offset:         8
        .size:           8
        .value_kind:     global_buffer
      - .offset:         16
        .size:           4
        .value_kind:     by_value
      - .offset:         20
        .size:           4
        .value_kind:     by_value
      - .offset:         24
        .size:           8
        .value_kind:     by_value
      - .address_space:  global
        .offset:         32
        .size:           8
        .value_kind:     global_buffer
      - .offset:         40
        .size:           4
        .value_kind:     by_value
      - .offset:         44
        .size:           4
        .value_kind:     by_value
      - .offset:         48
        .size:           8
        .value_kind:     by_value
      - .address_space:  global
        .offset:         56
        .size:           8
        .value_kind:     global_buffer
      - .offset:         64
        .size:           4
        .value_kind:     hidden_block_count_x
      - .offset:         68
        .size:           4
        .value_kind:     hidden_block_count_y
      - .offset:         72
        .size:           4
        .value_kind:     hidden_block_count_z
      - .offset:         76
        .size:           2
        .value_kind:     hidden_group_size_x
      - .offset:         78
        .size:           2
        .value_kind:     hidden_group_size_y
      - .offset:         80
        .size:           2
        .value_kind:     hidden_group_size_z
      - .offset:         82
        .size:           2
        .value_kind:     hidden_remainder_x
      - .offset:         84
        .size:           2
        .value_kind:     hidden_remainder_y
      - .offset:         86
        .size:           2
        .value_kind:     hidden_remainder_z
      - .offset:         104
        .size:           8
        .value_kind:     hidden_global_offset_x
      - .offset:         112
        .size:           8
        .value_kind:     hidden_global_offset_y
      - .offset:         120
        .size:           8
        .value_kind:     hidden_global_offset_z
      - .offset:         128
        .size:           2
        .value_kind:     hidden_grid_dims
    .group_segment_fixed_size: 0
    .kernarg_segment_align: 8
    .kernarg_segment_size: 320
    .language:       OpenCL C
    .language_version:
      - 2
      - 0
    .max_flat_workgroup_size: 512
    .name:           _ZN9rocsolver6v33100L16stedc_reshuffleCIfPfS2_EEviT0_iilT1_iilPi
    .private_segment_fixed_size: 0
    .sgpr_count:     41
    .sgpr_spill_count: 0
    .symbol:         _ZN9rocsolver6v33100L16stedc_reshuffleCIfPfS2_EEviT0_iilT1_iilPi.kd
    .uniform_work_group_size: 1
    .uses_dynamic_stack: false
    .vgpr_count:     33
    .vgpr_spill_count: 0
    .wavefront_size: 32
  - .args:
      - .offset:         0
        .size:           4
        .value_kind:     by_value
      - .offset:         4
        .size:           4
        .value_kind:     by_value
      - .address_space:  global
        .offset:         8
        .size:           8
        .value_kind:     global_buffer
      - .offset:         16
        .size:           8
        .value_kind:     by_value
      - .address_space:  global
        .offset:         24
        .size:           8
        .value_kind:     global_buffer
      - .offset:         32
        .size:           8
        .value_kind:     by_value
      - .address_space:  global
        .offset:         40
        .size:           8
        .value_kind:     global_buffer
      - .address_space:  global
        .offset:         48
        .size:           8
        .value_kind:     global_buffer
      - .address_space:  global
        .offset:         56
        .size:           8
        .value_kind:     global_buffer
      - .offset:         64
        .size:           4
        .value_kind:     by_value
      - .offset:         68
        .size:           4
        .value_kind:     by_value
      - .offset:         72
        .size:           4
        .value_kind:     by_value
      - .offset:         80
        .size:           4
        .value_kind:     hidden_block_count_x
      - .offset:         84
        .size:           4
        .value_kind:     hidden_block_count_y
      - .offset:         88
        .size:           4
        .value_kind:     hidden_block_count_z
      - .offset:         92
        .size:           2
        .value_kind:     hidden_group_size_x
      - .offset:         94
        .size:           2
        .value_kind:     hidden_group_size_y
      - .offset:         96
        .size:           2
        .value_kind:     hidden_group_size_z
      - .offset:         98
        .size:           2
        .value_kind:     hidden_remainder_x
      - .offset:         100
        .size:           2
        .value_kind:     hidden_remainder_y
      - .offset:         102
        .size:           2
        .value_kind:     hidden_remainder_z
      - .offset:         120
        .size:           8
        .value_kind:     hidden_global_offset_x
      - .offset:         128
        .size:           8
        .value_kind:     hidden_global_offset_y
      - .offset:         136
        .size:           8
        .value_kind:     hidden_global_offset_z
      - .offset:         144
        .size:           2
        .value_kind:     hidden_grid_dims
    .group_segment_fixed_size: 0
    .kernarg_segment_align: 8
    .kernarg_segment_size: 336
    .language:       OpenCL C
    .language_version:
      - 2
      - 0
    .max_flat_workgroup_size: 4
    .name:           _ZN9rocsolver6v33100L30stedc_mergeValues_Solve_kernelIfEEviiPT_lS3_lS3_S3_PiS2_S2_S2_
    .private_segment_fixed_size: 0
    .sgpr_count:     30
    .sgpr_spill_count: 0
    .symbol:         _ZN9rocsolver6v33100L30stedc_mergeValues_Solve_kernelIfEEviiPT_lS3_lS3_S3_PiS2_S2_S2_.kd
    .uniform_work_group_size: 1
    .uses_dynamic_stack: false
    .vgpr_count:     52
    .vgpr_spill_count: 0
    .wavefront_size: 32
  - .args:
      - .offset:         0
        .size:           4
        .value_kind:     by_value
      - .offset:         4
        .size:           4
        .value_kind:     by_value
      - .address_space:  global
        .offset:         8
        .size:           8
        .value_kind:     global_buffer
      - .offset:         16
        .size:           8
        .value_kind:     by_value
      - .address_space:  global
        .offset:         24
        .size:           8
        .value_kind:     global_buffer
      - .offset:         32
        .size:           8
        .value_kind:     by_value
      - .address_space:  global
        .offset:         40
        .size:           8
        .value_kind:     global_buffer
      - .address_space:  global
        .offset:         48
        .size:           8
        .value_kind:     global_buffer
      - .address_space:  global
        .offset:         56
        .size:           8
        .value_kind:     global_buffer
      - .offset:         64
        .size:           4
        .value_kind:     by_value
      - .offset:         68
        .size:           4
        .value_kind:     by_value
      - .offset:         72
        .size:           4
        .value_kind:     by_value
      - .offset:         80
        .size:           4
        .value_kind:     hidden_block_count_x
      - .offset:         84
        .size:           4
        .value_kind:     hidden_block_count_y
      - .offset:         88
        .size:           4
        .value_kind:     hidden_block_count_z
      - .offset:         92
        .size:           2
        .value_kind:     hidden_group_size_x
      - .offset:         94
        .size:           2
        .value_kind:     hidden_group_size_y
      - .offset:         96
        .size:           2
        .value_kind:     hidden_group_size_z
      - .offset:         98
        .size:           2
        .value_kind:     hidden_remainder_x
      - .offset:         100
        .size:           2
        .value_kind:     hidden_remainder_y
      - .offset:         102
        .size:           2
        .value_kind:     hidden_remainder_z
      - .offset:         120
        .size:           8
        .value_kind:     hidden_global_offset_x
      - .offset:         128
        .size:           8
        .value_kind:     hidden_global_offset_y
      - .offset:         136
        .size:           8
        .value_kind:     hidden_global_offset_z
      - .offset:         144
        .size:           2
        .value_kind:     hidden_grid_dims
    .group_segment_fixed_size: 2048
    .kernarg_segment_align: 8
    .kernarg_segment_size: 336
    .language:       OpenCL C
    .language_version:
      - 2
      - 0
    .max_flat_workgroup_size: 512
    .name:           _ZN9rocsolver6v33100L32stedc_mergeValues_Rescale_kernelIfEEviiPT_lS3_lS3_S3_PiS2_S2_S2_
    .private_segment_fixed_size: 0
    .sgpr_count:     28
    .sgpr_spill_count: 0
    .symbol:         _ZN9rocsolver6v33100L32stedc_mergeValues_Rescale_kernelIfEEviiPT_lS3_lS3_S3_PiS2_S2_S2_.kd
    .uniform_work_group_size: 1
    .uses_dynamic_stack: false
    .vgpr_count:     11
    .vgpr_spill_count: 0
    .wavefront_size: 32
  - .args:
      - .offset:         0
        .size:           4
        .value_kind:     by_value
      - .offset:         4
        .size:           4
        .value_kind:     by_value
      - .address_space:  global
        .offset:         8
        .size:           8
        .value_kind:     global_buffer
      - .offset:         16
        .size:           4
        .value_kind:     by_value
      - .offset:         20
        .size:           4
        .value_kind:     by_value
      - .offset:         24
        .size:           8
        .value_kind:     by_value
      - .address_space:  global
        .offset:         32
        .size:           8
        .value_kind:     global_buffer
      - .address_space:  global
        .offset:         40
        .size:           8
        .value_kind:     global_buffer
      - .address_space:  global
        .offset:         48
        .size:           8
        .value_kind:     global_buffer
      - .offset:         56
        .size:           4
        .value_kind:     hidden_block_count_x
      - .offset:         60
        .size:           4
        .value_kind:     hidden_block_count_y
      - .offset:         64
        .size:           4
        .value_kind:     hidden_block_count_z
      - .offset:         68
        .size:           2
        .value_kind:     hidden_group_size_x
      - .offset:         70
        .size:           2
        .value_kind:     hidden_group_size_y
      - .offset:         72
        .size:           2
        .value_kind:     hidden_group_size_z
      - .offset:         74
        .size:           2
        .value_kind:     hidden_remainder_x
      - .offset:         76
        .size:           2
        .value_kind:     hidden_remainder_y
      - .offset:         78
        .size:           2
        .value_kind:     hidden_remainder_z
      - .offset:         96
        .size:           8
        .value_kind:     hidden_global_offset_x
      - .offset:         104
        .size:           8
        .value_kind:     hidden_global_offset_y
      - .offset:         112
        .size:           8
        .value_kind:     hidden_global_offset_z
      - .offset:         120
        .size:           2
        .value_kind:     hidden_grid_dims
    .group_segment_fixed_size: 2048
    .kernarg_segment_align: 8
    .kernarg_segment_size: 312
    .language:       OpenCL C
    .language_version:
      - 2
      - 0
    .max_flat_workgroup_size: 512
    .name:           _ZN9rocsolver6v33100L25stedc_mergeVectors_kernelILb1EfEEviiPT0_iilS3_S3_Pi
    .private_segment_fixed_size: 0
    .sgpr_count:     26
    .sgpr_spill_count: 0
    .symbol:         _ZN9rocsolver6v33100L25stedc_mergeVectors_kernelILb1EfEEviiPT0_iilS3_S3_Pi.kd
    .uniform_work_group_size: 1
    .uses_dynamic_stack: false
    .vgpr_count:     16
    .vgpr_spill_count: 0
    .wavefront_size: 32
  - .args:
      - .offset:         0
        .size:           4
        .value_kind:     by_value
      - .offset:         4
        .size:           4
        .value_kind:     by_value
      - .address_space:  global
        .offset:         8
        .size:           8
        .value_kind:     global_buffer
      - .offset:         16
        .size:           8
        .value_kind:     by_value
      - .address_space:  global
        .offset:         24
        .size:           8
        .value_kind:     global_buffer
      - .offset:         32
        .size:           4
        .value_kind:     by_value
      - .offset:         36
        .size:           4
        .value_kind:     by_value
      - .offset:         40
        .size:           8
        .value_kind:     by_value
      - .address_space:  global
        .offset:         48
        .size:           8
        .value_kind:     global_buffer
      - .address_space:  global
        .offset:         56
        .size:           8
        .value_kind:     global_buffer
      - .address_space:  global
        .offset:         64
        .size:           8
        .value_kind:     global_buffer
      - .offset:         72
        .size:           4
        .value_kind:     hidden_block_count_x
      - .offset:         76
        .size:           4
        .value_kind:     hidden_block_count_y
      - .offset:         80
        .size:           4
        .value_kind:     hidden_block_count_z
      - .offset:         84
        .size:           2
        .value_kind:     hidden_group_size_x
      - .offset:         86
        .size:           2
        .value_kind:     hidden_group_size_y
      - .offset:         88
        .size:           2
        .value_kind:     hidden_group_size_z
      - .offset:         90
        .size:           2
        .value_kind:     hidden_remainder_x
      - .offset:         92
        .size:           2
        .value_kind:     hidden_remainder_y
      - .offset:         94
        .size:           2
        .value_kind:     hidden_remainder_z
      - .offset:         112
        .size:           8
        .value_kind:     hidden_global_offset_x
      - .offset:         120
        .size:           8
        .value_kind:     hidden_global_offset_y
      - .offset:         128
        .size:           8
        .value_kind:     hidden_global_offset_z
      - .offset:         136
        .size:           2
        .value_kind:     hidden_grid_dims
    .group_segment_fixed_size: 0
    .kernarg_segment_align: 8
    .kernarg_segment_size: 328
    .language:       OpenCL C
    .language_version:
      - 2
      - 0
    .max_flat_workgroup_size: 512
    .name:           _ZN9rocsolver6v33100L24stedc_mergeUpdate_kernelIfEEviiPT_lS3_iilS3_S3_Pi
    .private_segment_fixed_size: 0
    .sgpr_count:     30
    .sgpr_spill_count: 0
    .symbol:         _ZN9rocsolver6v33100L24stedc_mergeUpdate_kernelIfEEviiPT_lS3_iilS3_S3_Pi.kd
    .uniform_work_group_size: 1
    .uses_dynamic_stack: false
    .vgpr_count:     3
    .vgpr_spill_count: 0
    .wavefront_size: 32
  - .args:
      - .offset:         0
        .size:           4
        .value_kind:     by_value
      - .offset:         4
        .size:           4
        .value_kind:     by_value
      - .offset:         8
        .size:           4
        .value_kind:     by_value
      - .address_space:  global
        .offset:         16
        .size:           8
        .value_kind:     global_buffer
      - .offset:         24
        .size:           4
        .value_kind:     by_value
      - .offset:         28
        .size:           4
        .value_kind:     by_value
      - .offset:         32
        .size:           8
        .value_kind:     by_value
      - .address_space:  global
        .offset:         40
        .size:           8
        .value_kind:     global_buffer
      - .offset:         48
        .size:           1
        .value_kind:     by_value
      - .offset:         52
        .size:           4
        .value_kind:     by_value
      - .offset:         56
        .size:           4
        .value_kind:     by_value
      - .offset:         64
        .size:           4
        .value_kind:     hidden_block_count_x
      - .offset:         68
        .size:           4
        .value_kind:     hidden_block_count_y
      - .offset:         72
        .size:           4
        .value_kind:     hidden_block_count_z
      - .offset:         76
        .size:           2
        .value_kind:     hidden_group_size_x
      - .offset:         78
        .size:           2
        .value_kind:     hidden_group_size_y
      - .offset:         80
        .size:           2
        .value_kind:     hidden_group_size_z
      - .offset:         82
        .size:           2
        .value_kind:     hidden_remainder_x
      - .offset:         84
        .size:           2
        .value_kind:     hidden_remainder_y
      - .offset:         86
        .size:           2
        .value_kind:     hidden_remainder_z
      - .offset:         104
        .size:           8
        .value_kind:     hidden_global_offset_x
      - .offset:         112
        .size:           8
        .value_kind:     hidden_global_offset_y
      - .offset:         120
        .size:           8
        .value_kind:     hidden_global_offset_z
      - .offset:         128
        .size:           2
        .value_kind:     hidden_grid_dims
    .group_segment_fixed_size: 0
    .kernarg_segment_align: 8
    .kernarg_segment_size: 320
    .language:       OpenCL C
    .language_version:
      - 2
      - 0
    .max_flat_workgroup_size: 1024
    .name:           _ZN9rocsolver6v33100L8copy_matIfPfNS0_7no_maskEEEvNS0_17copymat_directionEiiT0_iilPT_T1_13rocblas_fill_17rocblas_diagonal_
    .private_segment_fixed_size: 0
    .sgpr_count:     20
    .sgpr_spill_count: 0
    .symbol:         _ZN9rocsolver6v33100L8copy_matIfPfNS0_7no_maskEEEvNS0_17copymat_directionEiiT0_iilPT_T1_13rocblas_fill_17rocblas_diagonal_.kd
    .uniform_work_group_size: 1
    .uses_dynamic_stack: false
    .vgpr_count:     3
    .vgpr_spill_count: 0
    .wavefront_size: 32
  - .args:
      - .offset:         0
        .size:           4
        .value_kind:     by_value
      - .address_space:  global
        .offset:         8
        .size:           8
        .value_kind:     global_buffer
      - .offset:         16
        .size:           8
        .value_kind:     by_value
      - .address_space:  global
        .offset:         24
        .size:           8
        .value_kind:     global_buffer
      - .offset:         32
        .size:           8
        .value_kind:     by_value
      - .offset:         40
        .size:           4
        .value_kind:     hidden_block_count_x
      - .offset:         44
        .size:           4
        .value_kind:     hidden_block_count_y
      - .offset:         48
        .size:           4
        .value_kind:     hidden_block_count_z
      - .offset:         52
        .size:           2
        .value_kind:     hidden_group_size_x
      - .offset:         54
        .size:           2
        .value_kind:     hidden_group_size_y
      - .offset:         56
        .size:           2
        .value_kind:     hidden_group_size_z
      - .offset:         58
        .size:           2
        .value_kind:     hidden_remainder_x
      - .offset:         60
        .size:           2
        .value_kind:     hidden_remainder_y
      - .offset:         62
        .size:           2
        .value_kind:     hidden_remainder_z
      - .offset:         80
        .size:           8
        .value_kind:     hidden_global_offset_x
      - .offset:         88
        .size:           8
        .value_kind:     hidden_global_offset_y
      - .offset:         96
        .size:           8
        .value_kind:     hidden_global_offset_z
      - .offset:         104
        .size:           2
        .value_kind:     hidden_grid_dims
    .group_segment_fixed_size: 0
    .kernarg_segment_align: 8
    .kernarg_segment_size: 296
    .language:       OpenCL C
    .language_version:
      - 2
      - 0
    .max_flat_workgroup_size: 512
    .name:           _ZN9rocsolver6v33100L11stedc_copyDIfEEviPT_lS3_l
    .private_segment_fixed_size: 0
    .sgpr_count:     41
    .sgpr_spill_count: 0
    .symbol:         _ZN9rocsolver6v33100L11stedc_copyDIfEEviPT_lS3_l.kd
    .uniform_work_group_size: 1
    .uses_dynamic_stack: false
    .vgpr_count:     33
    .vgpr_spill_count: 0
    .wavefront_size: 32
  - .args:
      - .offset:         0
        .size:           4
        .value_kind:     by_value
      - .address_space:  global
        .offset:         8
        .size:           8
        .value_kind:     global_buffer
      - .offset:         16
        .size:           8
        .value_kind:     by_value
      - .address_space:  global
        .offset:         24
        .size:           8
        .value_kind:     global_buffer
      - .offset:         32
        .size:           8
        .value_kind:     by_value
      - .address_space:  global
        .offset:         40
        .size:           8
        .value_kind:     global_buffer
      - .offset:         48
        .size:           4
        .value_kind:     by_value
      - .offset:         52
        .size:           4
        .value_kind:     by_value
      - .offset:         56
        .size:           8
        .value_kind:     by_value
      - .address_space:  global
        .offset:         64
        .size:           8
        .value_kind:     global_buffer
      - .offset:         72
        .size:           4
        .value_kind:     by_value
      - .offset:         76
        .size:           4
        .value_kind:     by_value
      - .offset:         80
        .size:           8
        .value_kind:     by_value
      - .offset:         88
        .size:           4
        .value_kind:     hidden_block_count_x
      - .offset:         92
        .size:           4
        .value_kind:     hidden_block_count_y
      - .offset:         96
        .size:           4
        .value_kind:     hidden_block_count_z
      - .offset:         100
        .size:           2
        .value_kind:     hidden_group_size_x
      - .offset:         102
        .size:           2
        .value_kind:     hidden_group_size_y
      - .offset:         104
        .size:           2
        .value_kind:     hidden_group_size_z
      - .offset:         106
        .size:           2
        .value_kind:     hidden_remainder_x
      - .offset:         108
        .size:           2
        .value_kind:     hidden_remainder_y
      - .offset:         110
        .size:           2
        .value_kind:     hidden_remainder_z
      - .offset:         128
        .size:           8
        .value_kind:     hidden_global_offset_x
      - .offset:         136
        .size:           8
        .value_kind:     hidden_global_offset_y
      - .offset:         144
        .size:           8
        .value_kind:     hidden_global_offset_z
      - .offset:         152
        .size:           2
        .value_kind:     hidden_grid_dims
    .group_segment_fixed_size: 2048
    .kernarg_segment_align: 8
    .kernarg_segment_size: 344
    .language:       OpenCL C
    .language_version:
      - 2
      - 0
    .max_flat_workgroup_size: 512
    .name:           _ZN9rocsolver6v33100L10stedc_sortIffPfS2_EEviPT0_lS4_lT1_iilT2_iil
    .private_segment_fixed_size: 0
    .sgpr_count:     57
    .sgpr_spill_count: 0
    .symbol:         _ZN9rocsolver6v33100L10stedc_sortIffPfS2_EEviPT0_lS4_lT1_iilT2_iil.kd
    .uniform_work_group_size: 1
    .uses_dynamic_stack: false
    .vgpr_count:     36
    .vgpr_spill_count: 0
    .wavefront_size: 32
  - .args:
      - .address_space:  global
        .offset:         0
        .size:           8
        .value_kind:     global_buffer
      - .offset:         8
        .size:           8
        .value_kind:     by_value
      - .offset:         16
        .size:           4
        .value_kind:     by_value
      - .offset:         20
        .size:           4
        .value_kind:     by_value
      - .offset:         24
        .size:           4
        .value_kind:     hidden_block_count_x
      - .offset:         28
        .size:           4
        .value_kind:     hidden_block_count_y
      - .offset:         32
        .size:           4
        .value_kind:     hidden_block_count_z
      - .offset:         36
        .size:           2
        .value_kind:     hidden_group_size_x
      - .offset:         38
        .size:           2
        .value_kind:     hidden_group_size_y
      - .offset:         40
        .size:           2
        .value_kind:     hidden_group_size_z
      - .offset:         42
        .size:           2
        .value_kind:     hidden_remainder_x
      - .offset:         44
        .size:           2
        .value_kind:     hidden_remainder_y
      - .offset:         46
        .size:           2
        .value_kind:     hidden_remainder_z
      - .offset:         64
        .size:           8
        .value_kind:     hidden_global_offset_x
      - .offset:         72
        .size:           8
        .value_kind:     hidden_global_offset_y
      - .offset:         80
        .size:           8
        .value_kind:     hidden_global_offset_z
      - .offset:         88
        .size:           2
        .value_kind:     hidden_grid_dims
    .group_segment_fixed_size: 0
    .kernarg_segment_align: 8
    .kernarg_segment_size: 280
    .language:       OpenCL C
    .language_version:
      - 2
      - 0
    .max_flat_workgroup_size: 1024
    .name:           _ZN9rocsolver6v33100L16reset_batch_infoIdiiPdEEvT2_lT0_T1_
    .private_segment_fixed_size: 0
    .sgpr_count:     10
    .sgpr_spill_count: 0
    .symbol:         _ZN9rocsolver6v33100L16reset_batch_infoIdiiPdEEvT2_lT0_T1_.kd
    .uniform_work_group_size: 1
    .uses_dynamic_stack: false
    .vgpr_count:     4
    .vgpr_spill_count: 0
    .wavefront_size: 32
  - .args:
      - .offset:         0
        .size:           4
        .value_kind:     by_value
      - .address_space:  global
        .offset:         8
        .size:           8
        .value_kind:     global_buffer
      - .offset:         16
        .size:           8
        .value_kind:     by_value
      - .address_space:  global
        .offset:         24
        .size:           8
        .value_kind:     global_buffer
      - .offset:         32
        .size:           8
        .value_kind:     by_value
      - .address_space:  global
        .offset:         40
        .size:           8
        .value_kind:     global_buffer
      - .address_space:  global
        .offset:         48
        .size:           8
        .value_kind:     global_buffer
      - .offset:         56
        .size:           4
        .value_kind:     by_value
      - .offset:         64
        .size:           8
        .value_kind:     by_value
      - .offset:         72
        .size:           8
        .value_kind:     by_value
      - .offset:         80
        .size:           8
        .value_kind:     by_value
    .group_segment_fixed_size: 0
    .kernarg_segment_align: 8
    .kernarg_segment_size: 88
    .language:       OpenCL C
    .language_version:
      - 2
      - 0
    .max_flat_workgroup_size: 1024
    .name:           _ZN9rocsolver6v33100L12sterf_kernelIdEEviPT_lS3_lPiS4_iS2_S2_S2_
    .private_segment_fixed_size: 0
    .sgpr_count:     62
    .sgpr_spill_count: 0
    .symbol:         _ZN9rocsolver6v33100L12sterf_kernelIdEEviPT_lS3_lPiS4_iS2_S2_S2_.kd
    .uniform_work_group_size: 1
    .uses_dynamic_stack: false
    .vgpr_count:     40
    .vgpr_spill_count: 0
    .wavefront_size: 32
  - .args:
      - .offset:         0
        .size:           4
        .value_kind:     by_value
      - .offset:         4
        .size:           4
        .value_kind:     by_value
      - .offset:         8
        .size:           4
        .value_kind:     by_value
      - .offset:         12
        .size:           4
        .value_kind:     by_value
      - .offset:         16
        .size:           4
        .value_kind:     by_value
      - .address_space:  global
        .offset:         24
        .size:           8
        .value_kind:     global_buffer
      - .offset:         32
        .size:           8
        .value_kind:     by_value
      - .address_space:  global
        .offset:         40
        .size:           8
        .value_kind:     global_buffer
      - .offset:         48
        .size:           8
        .value_kind:     by_value
      - .address_space:  global
        .offset:         56
        .size:           8
        .value_kind:     global_buffer
      - .offset:         64
        .size:           8
        .value_kind:     by_value
      - .offset:         72
        .size:           4
        .value_kind:     by_value
      - .offset:         80
        .size:           8
        .value_kind:     by_value
      - .offset:         88
        .size:           4
        .value_kind:     by_value
      - .offset:         96
        .size:           4
        .value_kind:     hidden_block_count_x
      - .offset:         100
        .size:           4
        .value_kind:     hidden_block_count_y
      - .offset:         104
        .size:           4
        .value_kind:     hidden_block_count_z
      - .offset:         108
        .size:           2
        .value_kind:     hidden_group_size_x
      - .offset:         110
        .size:           2
        .value_kind:     hidden_group_size_y
      - .offset:         112
        .size:           2
        .value_kind:     hidden_group_size_z
      - .offset:         114
        .size:           2
        .value_kind:     hidden_remainder_x
      - .offset:         116
        .size:           2
        .value_kind:     hidden_remainder_y
      - .offset:         118
        .size:           2
        .value_kind:     hidden_remainder_z
      - .offset:         136
        .size:           8
        .value_kind:     hidden_global_offset_x
      - .offset:         144
        .size:           8
        .value_kind:     hidden_global_offset_y
      - .offset:         152
        .size:           8
        .value_kind:     hidden_global_offset_z
      - .offset:         160
        .size:           2
        .value_kind:     hidden_grid_dims
    .group_segment_fixed_size: 0
    .kernarg_segment_align: 8
    .kernarg_segment_size: 352
    .language:       OpenCL C
    .language_version:
      - 2
      - 0
    .max_flat_workgroup_size: 64
    .name:           _ZN9rocsolver6v33100L11lasr_kernelIddPdiEEv13rocblas_side_14rocblas_pivot_15rocblas_direct_T2_S6_PT0_lS8_lT1_lS6_lS6_
    .private_segment_fixed_size: 0
    .sgpr_count:     93
    .sgpr_spill_count: 0
    .symbol:         _ZN9rocsolver6v33100L11lasr_kernelIddPdiEEv13rocblas_side_14rocblas_pivot_15rocblas_direct_T2_S6_PT0_lS8_lT1_lS6_lS6_.kd
    .uniform_work_group_size: 1
    .uses_dynamic_stack: false
    .vgpr_count:     46
    .vgpr_spill_count: 0
    .wavefront_size: 32
  - .args:
      - .offset:         0
        .size:           4
        .value_kind:     by_value
      - .address_space:  global
        .offset:         8
        .size:           8
        .value_kind:     global_buffer
      - .offset:         16
        .size:           4
        .value_kind:     by_value
      - .address_space:  global
        .offset:         24
        .size:           8
        .value_kind:     global_buffer
      - .offset:         32
        .size:           4
        .value_kind:     by_value
      - .offset:         40
        .size:           4
        .value_kind:     hidden_block_count_x
      - .offset:         44
        .size:           4
        .value_kind:     hidden_block_count_y
      - .offset:         48
        .size:           4
        .value_kind:     hidden_block_count_z
      - .offset:         52
        .size:           2
        .value_kind:     hidden_group_size_x
      - .offset:         54
        .size:           2
        .value_kind:     hidden_group_size_y
      - .offset:         56
        .size:           2
        .value_kind:     hidden_group_size_z
      - .offset:         58
        .size:           2
        .value_kind:     hidden_remainder_x
      - .offset:         60
        .size:           2
        .value_kind:     hidden_remainder_y
      - .offset:         62
        .size:           2
        .value_kind:     hidden_remainder_z
      - .offset:         80
        .size:           8
        .value_kind:     hidden_global_offset_x
      - .offset:         88
        .size:           8
        .value_kind:     hidden_global_offset_y
      - .offset:         96
        .size:           8
        .value_kind:     hidden_global_offset_z
      - .offset:         104
        .size:           2
        .value_kind:     hidden_grid_dims
    .group_segment_fixed_size: 0
    .kernarg_segment_align: 8
    .kernarg_segment_size: 296
    .language:       OpenCL C
    .language_version:
      - 2
      - 0
    .max_flat_workgroup_size: 1024
    .name:           _ZN9rocsolver6v33100L11swap_kernelIdiEEvT0_PT_S2_S4_S2_
    .private_segment_fixed_size: 0
    .sgpr_count:     18
    .sgpr_spill_count: 0
    .symbol:         _ZN9rocsolver6v33100L11swap_kernelIdiEEvT0_PT_S2_S4_S2_.kd
    .uniform_work_group_size: 1
    .uses_dynamic_stack: false
    .vgpr_count:     12
    .vgpr_spill_count: 0
    .wavefront_size: 32
  - .args:
      - .offset:         0
        .size:           4
        .value_kind:     by_value
      - .address_space:  global
        .offset:         8
        .size:           8
        .value_kind:     global_buffer
      - .offset:         16
        .size:           8
        .value_kind:     by_value
      - .address_space:  global
        .offset:         24
        .size:           8
        .value_kind:     global_buffer
      - .offset:         32
        .size:           8
        .value_kind:     by_value
      - .address_space:  global
        .offset:         40
        .size:           8
        .value_kind:     global_buffer
      - .offset:         48
        .size:           4
        .value_kind:     by_value
      - .offset:         52
        .size:           4
        .value_kind:     by_value
      - .offset:         56
        .size:           8
        .value_kind:     by_value
      - .address_space:  global
        .offset:         64
        .size:           8
        .value_kind:     global_buffer
      - .address_space:  global
        .offset:         72
        .size:           8
        .value_kind:     global_buffer
      - .offset:         80
        .size:           4
        .value_kind:     by_value
      - .offset:         88
        .size:           8
        .value_kind:     by_value
      - .offset:         96
        .size:           8
        .value_kind:     by_value
      - .offset:         104
        .size:           8
        .value_kind:     by_value
      - .offset:         112
        .size:           4
        .value_kind:     hidden_block_count_x
      - .offset:         116
        .size:           4
        .value_kind:     hidden_block_count_y
      - .offset:         120
        .size:           4
        .value_kind:     hidden_block_count_z
      - .offset:         124
        .size:           2
        .value_kind:     hidden_group_size_x
      - .offset:         126
        .size:           2
        .value_kind:     hidden_group_size_y
      - .offset:         128
        .size:           2
        .value_kind:     hidden_group_size_z
      - .offset:         130
        .size:           2
        .value_kind:     hidden_remainder_x
      - .offset:         132
        .size:           2
        .value_kind:     hidden_remainder_y
      - .offset:         134
        .size:           2
        .value_kind:     hidden_remainder_z
      - .offset:         152
        .size:           8
        .value_kind:     hidden_global_offset_x
      - .offset:         160
        .size:           8
        .value_kind:     hidden_global_offset_y
      - .offset:         168
        .size:           8
        .value_kind:     hidden_global_offset_z
      - .offset:         176
        .size:           2
        .value_kind:     hidden_grid_dims
    .group_segment_fixed_size: 48
    .kernarg_segment_align: 8
    .kernarg_segment_size: 368
    .language:       OpenCL C
    .language_version:
      - 2
      - 0
    .max_flat_workgroup_size: 1024
    .name:           _ZN9rocsolver6v33100L12steqr_kernelIddPdEEviPT0_lS4_lT1_iilPiS4_iS3_S3_S3_
    .private_segment_fixed_size: 156
    .sgpr_count:     38
    .sgpr_spill_count: 0
    .symbol:         _ZN9rocsolver6v33100L12steqr_kernelIddPdEEviPT0_lS4_lT1_iilPiS4_iS3_S3_S3_.kd
    .uniform_work_group_size: 1
    .uses_dynamic_stack: false
    .vgpr_count:     120
    .vgpr_spill_count: 0
    .wavefront_size: 32
  - .args:
      - .offset:         0
        .size:           4
        .value_kind:     by_value
      - .offset:         4
        .size:           4
        .value_kind:     by_value
      - .address_space:  global
        .offset:         8
        .size:           8
        .value_kind:     global_buffer
      - .offset:         16
        .size:           4
        .value_kind:     by_value
      - .offset:         20
        .size:           4
        .value_kind:     by_value
      - .offset:         24
        .size:           8
        .value_kind:     by_value
      - .offset:         32
        .size:           4
        .value_kind:     hidden_block_count_x
      - .offset:         36
        .size:           4
        .value_kind:     hidden_block_count_y
      - .offset:         40
        .size:           4
        .value_kind:     hidden_block_count_z
      - .offset:         44
        .size:           2
        .value_kind:     hidden_group_size_x
      - .offset:         46
        .size:           2
        .value_kind:     hidden_group_size_y
      - .offset:         48
        .size:           2
        .value_kind:     hidden_group_size_z
      - .offset:         50
        .size:           2
        .value_kind:     hidden_remainder_x
      - .offset:         52
        .size:           2
        .value_kind:     hidden_remainder_y
      - .offset:         54
        .size:           2
        .value_kind:     hidden_remainder_z
      - .offset:         72
        .size:           8
        .value_kind:     hidden_global_offset_x
      - .offset:         80
        .size:           8
        .value_kind:     hidden_global_offset_y
      - .offset:         88
        .size:           8
        .value_kind:     hidden_global_offset_z
      - .offset:         96
        .size:           2
        .value_kind:     hidden_grid_dims
    .group_segment_fixed_size: 0
    .kernarg_segment_align: 8
    .kernarg_segment_size: 288
    .language:       OpenCL C
    .language_version:
      - 2
      - 0
    .max_flat_workgroup_size: 1024
    .name:           _ZN9rocsolver6v33100L10init_identIdPdEEviiT0_iil
    .private_segment_fixed_size: 0
    .sgpr_count:     13
    .sgpr_spill_count: 0
    .symbol:         _ZN9rocsolver6v33100L10init_identIdPdEEviiT0_iil.kd
    .uniform_work_group_size: 1
    .uses_dynamic_stack: false
    .vgpr_count:     4
    .vgpr_spill_count: 0
    .wavefront_size: 32
  - .args:
      - .offset:         0
        .size:           4
        .value_kind:     by_value
      - .offset:         4
        .size:           4
        .value_kind:     by_value
      - .offset:         8
        .size:           4
        .value_kind:     by_value
      - .address_space:  global
        .offset:         16
        .size:           8
        .value_kind:     global_buffer
      - .offset:         24
        .size:           8
        .value_kind:     by_value
      - .address_space:  global
        .offset:         32
        .size:           8
        .value_kind:     global_buffer
      - .offset:         40
        .size:           8
        .value_kind:     by_value
      - .offset:         48
        .size:           4
        .value_kind:     by_value
      - .address_space:  global
        .offset:         56
        .size:           8
        .value_kind:     global_buffer
      - .offset:         64
        .size:           4
        .value_kind:     hidden_block_count_x
      - .offset:         68
        .size:           4
        .value_kind:     hidden_block_count_y
      - .offset:         72
        .size:           4
        .value_kind:     hidden_block_count_z
      - .offset:         76
        .size:           2
        .value_kind:     hidden_group_size_x
      - .offset:         78
        .size:           2
        .value_kind:     hidden_group_size_y
      - .offset:         80
        .size:           2
        .value_kind:     hidden_group_size_z
      - .offset:         82
        .size:           2
        .value_kind:     hidden_remainder_x
      - .offset:         84
        .size:           2
        .value_kind:     hidden_remainder_y
      - .offset:         86
        .size:           2
        .value_kind:     hidden_remainder_z
      - .offset:         104
        .size:           8
        .value_kind:     hidden_global_offset_x
      - .offset:         112
        .size:           8
        .value_kind:     hidden_global_offset_y
      - .offset:         120
        .size:           8
        .value_kind:     hidden_global_offset_z
      - .offset:         128
        .size:           2
        .value_kind:     hidden_grid_dims
    .group_segment_fixed_size: 0
    .kernarg_segment_align: 8
    .kernarg_segment_size: 320
    .language:       OpenCL C
    .language_version:
      - 2
      - 0
    .max_flat_workgroup_size: 512
    .name:           _ZN9rocsolver6v33100L19stedc_divide_kernelIdEEviiiPT_lS3_liPi
    .private_segment_fixed_size: 0
    .sgpr_count:     16
    .sgpr_spill_count: 0
    .symbol:         _ZN9rocsolver6v33100L19stedc_divide_kernelIdEEviiiPT_lS3_liPi.kd
    .uniform_work_group_size: 1
    .uses_dynamic_stack: false
    .vgpr_count:     18
    .vgpr_spill_count: 0
    .wavefront_size: 32
  - .args:
      - .offset:         0
        .size:           4
        .value_kind:     by_value
      - .offset:         4
        .size:           4
        .value_kind:     by_value
      - .address_space:  global
        .offset:         8
        .size:           8
        .value_kind:     global_buffer
      - .offset:         16
        .size:           8
        .value_kind:     by_value
      - .address_space:  global
        .offset:         24
        .size:           8
        .value_kind:     global_buffer
      - .offset:         32
        .size:           8
        .value_kind:     by_value
      - .address_space:  global
        .offset:         40
        .size:           8
        .value_kind:     global_buffer
      - .offset:         48
        .size:           4
        .value_kind:     by_value
      - .offset:         52
        .size:           4
        .value_kind:     by_value
      - .offset:         56
        .size:           8
        .value_kind:     by_value
      - .address_space:  global
        .offset:         64
        .size:           8
        .value_kind:     global_buffer
      - .address_space:  global
        .offset:         72
        .size:           8
        .value_kind:     global_buffer
      - .address_space:  global
        .offset:         80
        .size:           8
        .value_kind:     global_buffer
      - .offset:         88
        .size:           8
        .value_kind:     by_value
      - .offset:         96
        .size:           8
        .value_kind:     by_value
      - .offset:         104
        .size:           8
        .value_kind:     by_value
      - .offset:         112
        .size:           4
        .value_kind:     hidden_block_count_x
      - .offset:         116
        .size:           4
        .value_kind:     hidden_block_count_y
      - .offset:         120
        .size:           4
        .value_kind:     hidden_block_count_z
      - .offset:         124
        .size:           2
        .value_kind:     hidden_group_size_x
      - .offset:         126
        .size:           2
        .value_kind:     hidden_group_size_y
      - .offset:         128
        .size:           2
        .value_kind:     hidden_group_size_z
      - .offset:         130
        .size:           2
        .value_kind:     hidden_remainder_x
      - .offset:         132
        .size:           2
        .value_kind:     hidden_remainder_y
      - .offset:         134
        .size:           2
        .value_kind:     hidden_remainder_z
      - .offset:         152
        .size:           8
        .value_kind:     hidden_global_offset_x
      - .offset:         160
        .size:           8
        .value_kind:     hidden_global_offset_y
      - .offset:         168
        .size:           8
        .value_kind:     hidden_global_offset_z
      - .offset:         176
        .size:           2
        .value_kind:     hidden_grid_dims
    .group_segment_fixed_size: 48
    .kernarg_segment_align: 8
    .kernarg_segment_size: 368
    .language:       OpenCL C
    .language_version:
      - 2
      - 0
    .max_flat_workgroup_size: 512
    .name:           _ZN9rocsolver6v33100L18stedc_solve_kernelIdEEviiPT_lS3_lS3_iilPiS3_S4_S2_S2_S2_
    .private_segment_fixed_size: 156
    .sgpr_count:     39
    .sgpr_spill_count: 0
    .symbol:         _ZN9rocsolver6v33100L18stedc_solve_kernelIdEEviiPT_lS3_lS3_iilPiS3_S4_S2_S2_S2_.kd
    .uniform_work_group_size: 1
    .uses_dynamic_stack: false
    .vgpr_count:     120
    .vgpr_spill_count: 0
    .wavefront_size: 32
  - .args:
      - .offset:         0
        .size:           4
        .value_kind:     by_value
      - .offset:         4
        .size:           4
        .value_kind:     by_value
      - .address_space:  global
        .offset:         8
        .size:           8
        .value_kind:     global_buffer
      - .offset:         16
        .size:           8
        .value_kind:     by_value
      - .address_space:  global
        .offset:         24
        .size:           8
        .value_kind:     global_buffer
      - .offset:         32
        .size:           8
        .value_kind:     by_value
      - .address_space:  global
        .offset:         40
        .size:           8
        .value_kind:     global_buffer
      - .offset:         48
        .size:           4
        .value_kind:     by_value
      - .offset:         52
        .size:           4
        .value_kind:     by_value
      - .offset:         56
        .size:           8
        .value_kind:     by_value
      - .address_space:  global
        .offset:         64
        .size:           8
        .value_kind:     global_buffer
      - .address_space:  global
        .offset:         72
        .size:           8
        .value_kind:     global_buffer
      - .offset:         80
        .size:           8
        .value_kind:     by_value
      - .offset:         88
        .size:           4
        .value_kind:     hidden_block_count_x
      - .offset:         92
        .size:           4
        .value_kind:     hidden_block_count_y
      - .offset:         96
        .size:           4
        .value_kind:     hidden_block_count_z
      - .offset:         100
        .size:           2
        .value_kind:     hidden_group_size_x
      - .offset:         102
        .size:           2
        .value_kind:     hidden_group_size_y
      - .offset:         104
        .size:           2
        .value_kind:     hidden_group_size_z
      - .offset:         106
        .size:           2
        .value_kind:     hidden_remainder_x
      - .offset:         108
        .size:           2
        .value_kind:     hidden_remainder_y
      - .offset:         110
        .size:           2
        .value_kind:     hidden_remainder_z
      - .offset:         128
        .size:           8
        .value_kind:     hidden_global_offset_x
      - .offset:         136
        .size:           8
        .value_kind:     hidden_global_offset_y
      - .offset:         144
        .size:           8
        .value_kind:     hidden_global_offset_z
      - .offset:         152
        .size:           2
        .value_kind:     hidden_grid_dims
    .group_segment_fixed_size: 8192
    .kernarg_segment_align: 8
    .kernarg_segment_size: 344
    .language:       OpenCL C
    .language_version:
      - 2
      - 0
    .max_flat_workgroup_size: 512
    .name:           _ZN9rocsolver6v33100L37stedc_mergePrepare_DeflateZero_kernelIdEEviiPT_lS3_lS3_iilS3_PiS2_
    .private_segment_fixed_size: 0
    .sgpr_count:     39
    .sgpr_spill_count: 0
    .symbol:         _ZN9rocsolver6v33100L37stedc_mergePrepare_DeflateZero_kernelIdEEviiPT_lS3_lS3_iilS3_PiS2_.kd
    .uniform_work_group_size: 1
    .uses_dynamic_stack: false
    .vgpr_count:     18
    .vgpr_spill_count: 0
    .wavefront_size: 32
  - .args:
      - .offset:         0
        .size:           4
        .value_kind:     by_value
      - .offset:         4
        .size:           4
        .value_kind:     by_value
      - .address_space:  global
        .offset:         8
        .size:           8
        .value_kind:     global_buffer
      - .offset:         16
        .size:           8
        .value_kind:     by_value
      - .address_space:  global
        .offset:         24
        .size:           8
        .value_kind:     global_buffer
      - .address_space:  global
        .offset:         32
        .size:           8
        .value_kind:     global_buffer
      - .offset:         40
        .size:           4
        .value_kind:     hidden_block_count_x
      - .offset:         44
        .size:           4
        .value_kind:     hidden_block_count_y
      - .offset:         48
        .size:           4
        .value_kind:     hidden_block_count_z
      - .offset:         52
        .size:           2
        .value_kind:     hidden_group_size_x
      - .offset:         54
        .size:           2
        .value_kind:     hidden_group_size_y
      - .offset:         56
        .size:           2
        .value_kind:     hidden_group_size_z
      - .offset:         58
        .size:           2
        .value_kind:     hidden_remainder_x
      - .offset:         60
        .size:           2
        .value_kind:     hidden_remainder_y
      - .offset:         62
        .size:           2
        .value_kind:     hidden_remainder_z
      - .offset:         80
        .size:           8
        .value_kind:     hidden_global_offset_x
      - .offset:         88
        .size:           8
        .value_kind:     hidden_global_offset_y
      - .offset:         96
        .size:           8
        .value_kind:     hidden_global_offset_z
      - .offset:         104
        .size:           2
        .value_kind:     hidden_grid_dims
    .group_segment_fixed_size: 4096
    .kernarg_segment_align: 8
    .kernarg_segment_size: 296
    .language:       OpenCL C
    .language_version:
      - 2
      - 0
    .max_flat_workgroup_size: 512
    .name:           _ZN9rocsolver6v33100L31stedc_mergePrepare_SortD_kernelIdEEviiPT_lS3_Pi
    .private_segment_fixed_size: 0
    .sgpr_count:     45
    .sgpr_spill_count: 0
    .symbol:         _ZN9rocsolver6v33100L31stedc_mergePrepare_SortD_kernelIdEEviiPT_lS3_Pi.kd
    .uniform_work_group_size: 1
    .uses_dynamic_stack: false
    .vgpr_count:     38
    .vgpr_spill_count: 0
    .wavefront_size: 32
  - .args:
      - .offset:         0
        .size:           4
        .value_kind:     by_value
      - .offset:         4
        .size:           4
        .value_kind:     by_value
      - .address_space:  global
        .offset:         8
        .size:           8
        .value_kind:     global_buffer
      - .offset:         16
        .size:           8
        .value_kind:     by_value
      - .address_space:  global
        .offset:         24
        .size:           8
        .value_kind:     global_buffer
      - .address_space:  global
        .offset:         32
        .size:           8
        .value_kind:     global_buffer
      - .offset:         40
        .size:           4
        .value_kind:     hidden_block_count_x
      - .offset:         44
        .size:           4
        .value_kind:     hidden_block_count_y
      - .offset:         48
        .size:           4
        .value_kind:     hidden_block_count_z
      - .offset:         52
        .size:           2
        .value_kind:     hidden_group_size_x
      - .offset:         54
        .size:           2
        .value_kind:     hidden_group_size_y
      - .offset:         56
        .size:           2
        .value_kind:     hidden_group_size_z
      - .offset:         58
        .size:           2
        .value_kind:     hidden_remainder_x
      - .offset:         60
        .size:           2
        .value_kind:     hidden_remainder_y
      - .offset:         62
        .size:           2
        .value_kind:     hidden_remainder_z
      - .offset:         80
        .size:           8
        .value_kind:     hidden_global_offset_x
      - .offset:         88
        .size:           8
        .value_kind:     hidden_global_offset_y
      - .offset:         96
        .size:           8
        .value_kind:     hidden_global_offset_z
      - .offset:         104
        .size:           2
        .value_kind:     hidden_grid_dims
    .group_segment_fixed_size: 0
    .kernarg_segment_align: 8
    .kernarg_segment_size: 296
    .language:       OpenCL C
    .language_version:
      - 2
      - 0
    .max_flat_workgroup_size: 512
    .name:           _ZN9rocsolver6v33100L38stedc_mergePrepare_SetCandFlags_kernelIdEEviiPT_lS3_Pi
    .private_segment_fixed_size: 0
    .sgpr_count:     20
    .sgpr_spill_count: 0
    .symbol:         _ZN9rocsolver6v33100L38stedc_mergePrepare_SetCandFlags_kernelIdEEviiPT_lS3_Pi.kd
    .uniform_work_group_size: 1
    .uses_dynamic_stack: false
    .vgpr_count:     16
    .vgpr_spill_count: 0
    .wavefront_size: 32
  - .args:
      - .offset:         0
        .size:           4
        .value_kind:     by_value
      - .offset:         4
        .size:           4
        .value_kind:     by_value
      - .address_space:  global
        .offset:         8
        .size:           8
        .value_kind:     global_buffer
      - .offset:         16
        .size:           8
        .value_kind:     by_value
      - .address_space:  global
        .offset:         24
        .size:           8
        .value_kind:     global_buffer
      - .address_space:  global
        .offset:         32
        .size:           8
        .value_kind:     global_buffer
      - .offset:         40
        .size:           4
        .value_kind:     hidden_block_count_x
      - .offset:         44
        .size:           4
        .value_kind:     hidden_block_count_y
      - .offset:         48
        .size:           4
        .value_kind:     hidden_block_count_z
      - .offset:         52
        .size:           2
        .value_kind:     hidden_group_size_x
      - .offset:         54
        .size:           2
        .value_kind:     hidden_group_size_y
      - .offset:         56
        .size:           2
        .value_kind:     hidden_group_size_z
      - .offset:         58
        .size:           2
        .value_kind:     hidden_remainder_x
      - .offset:         60
        .size:           2
        .value_kind:     hidden_remainder_y
      - .offset:         62
        .size:           2
        .value_kind:     hidden_remainder_z
      - .offset:         80
        .size:           8
        .value_kind:     hidden_global_offset_x
      - .offset:         88
        .size:           8
        .value_kind:     hidden_global_offset_y
      - .offset:         96
        .size:           8
        .value_kind:     hidden_global_offset_z
      - .offset:         104
        .size:           2
        .value_kind:     hidden_grid_dims
    .group_segment_fixed_size: 49152
    .kernarg_segment_align: 8
    .kernarg_segment_size: 296
    .language:       OpenCL C
    .language_version:
      - 2
      - 0
    .max_flat_workgroup_size: 512
    .name:           _ZN9rocsolver6v33100L38stedc_mergePrepare_DeflateCount_kernelIdEEviiPT_lS3_Pi
    .private_segment_fixed_size: 0
    .sgpr_count:     30
    .sgpr_spill_count: 0
    .symbol:         _ZN9rocsolver6v33100L38stedc_mergePrepare_DeflateCount_kernelIdEEviiPT_lS3_Pi.kd
    .uniform_work_group_size: 1
    .uses_dynamic_stack: false
    .vgpr_count:     19
    .vgpr_spill_count: 0
    .wavefront_size: 32
  - .args:
      - .offset:         0
        .size:           4
        .value_kind:     by_value
      - .offset:         4
        .size:           4
        .value_kind:     by_value
      - .address_space:  global
        .offset:         8
        .size:           8
        .value_kind:     global_buffer
      - .offset:         16
        .size:           8
        .value_kind:     by_value
      - .address_space:  global
        .offset:         24
        .size:           8
        .value_kind:     global_buffer
      - .address_space:  global
        .offset:         32
        .size:           8
        .value_kind:     global_buffer
      - .offset:         40
        .size:           4
        .value_kind:     hidden_block_count_x
      - .offset:         44
        .size:           4
        .value_kind:     hidden_block_count_y
      - .offset:         48
        .size:           4
        .value_kind:     hidden_block_count_z
      - .offset:         52
        .size:           2
        .value_kind:     hidden_group_size_x
      - .offset:         54
        .size:           2
        .value_kind:     hidden_group_size_y
      - .offset:         56
        .size:           2
        .value_kind:     hidden_group_size_z
      - .offset:         58
        .size:           2
        .value_kind:     hidden_remainder_x
      - .offset:         60
        .size:           2
        .value_kind:     hidden_remainder_y
      - .offset:         62
        .size:           2
        .value_kind:     hidden_remainder_z
      - .offset:         80
        .size:           8
        .value_kind:     hidden_global_offset_x
      - .offset:         88
        .size:           8
        .value_kind:     hidden_global_offset_y
      - .offset:         96
        .size:           8
        .value_kind:     hidden_global_offset_z
      - .offset:         104
        .size:           2
        .value_kind:     hidden_grid_dims
    .group_segment_fixed_size: 49152
    .kernarg_segment_align: 8
    .kernarg_segment_size: 296
    .language:       OpenCL C
    .language_version:
      - 2
      - 0
    .max_flat_workgroup_size: 512
    .name:           _ZN9rocsolver6v33100L38stedc_mergePrepare_DeflateApply_kernelIdEEviiPT_lS3_Pi
    .private_segment_fixed_size: 0
    .sgpr_count:     24
    .sgpr_spill_count: 0
    .symbol:         _ZN9rocsolver6v33100L38stedc_mergePrepare_DeflateApply_kernelIdEEviiPT_lS3_Pi.kd
    .uniform_work_group_size: 1
    .uses_dynamic_stack: false
    .vgpr_count:     28
    .vgpr_spill_count: 0
    .wavefront_size: 32
  - .args:
      - .offset:         0
        .size:           4
        .value_kind:     by_value
      - .offset:         4
        .size:           4
        .value_kind:     by_value
      - .address_space:  global
        .offset:         8
        .size:           8
        .value_kind:     global_buffer
      - .offset:         16
        .size:           4
        .value_kind:     by_value
      - .offset:         20
        .size:           4
        .value_kind:     by_value
      - .offset:         24
        .size:           8
        .value_kind:     by_value
      - .address_space:  global
        .offset:         32
        .size:           8
        .value_kind:     global_buffer
      - .address_space:  global
        .offset:         40
        .size:           8
        .value_kind:     global_buffer
      - .offset:         48
        .size:           4
        .value_kind:     hidden_block_count_x
      - .offset:         52
        .size:           4
        .value_kind:     hidden_block_count_y
      - .offset:         56
        .size:           4
        .value_kind:     hidden_block_count_z
      - .offset:         60
        .size:           2
        .value_kind:     hidden_group_size_x
      - .offset:         62
        .size:           2
        .value_kind:     hidden_group_size_y
      - .offset:         64
        .size:           2
        .value_kind:     hidden_group_size_z
      - .offset:         66
        .size:           2
        .value_kind:     hidden_remainder_x
      - .offset:         68
        .size:           2
        .value_kind:     hidden_remainder_y
      - .offset:         70
        .size:           2
        .value_kind:     hidden_remainder_z
      - .offset:         88
        .size:           8
        .value_kind:     hidden_global_offset_x
      - .offset:         96
        .size:           8
        .value_kind:     hidden_global_offset_y
      - .offset:         104
        .size:           8
        .value_kind:     hidden_global_offset_z
      - .offset:         112
        .size:           2
        .value_kind:     hidden_grid_dims
    .group_segment_fixed_size: 0
    .kernarg_segment_align: 8
    .kernarg_segment_size: 304
    .language:       OpenCL C
    .language_version:
      - 2
      - 0
    .max_flat_workgroup_size: 512
    .name:           _ZN9rocsolver6v33100L24stedc_mergeRotate_kernelIdEEviiPT_iilS3_Pi
    .private_segment_fixed_size: 0
    .sgpr_count:     43
    .sgpr_spill_count: 0
    .symbol:         _ZN9rocsolver6v33100L24stedc_mergeRotate_kernelIdEEviiPT_iilS3_Pi.kd
    .uniform_work_group_size: 1
    .uses_dynamic_stack: false
    .vgpr_count:     138
    .vgpr_spill_count: 0
    .wavefront_size: 32
  - .args:
      - .offset:         0
        .size:           4
        .value_kind:     by_value
      - .offset:         4
        .size:           4
        .value_kind:     by_value
      - .address_space:  global
        .offset:         8
        .size:           8
        .value_kind:     global_buffer
      - .offset:         16
        .size:           8
        .value_kind:     by_value
      - .address_space:  global
        .offset:         24
        .size:           8
        .value_kind:     global_buffer
      - .address_space:  global
        .offset:         32
        .size:           8
        .value_kind:     global_buffer
      - .offset:         40
        .size:           4
        .value_kind:     hidden_block_count_x
      - .offset:         44
        .size:           4
        .value_kind:     hidden_block_count_y
      - .offset:         48
        .size:           4
        .value_kind:     hidden_block_count_z
      - .offset:         52
        .size:           2
        .value_kind:     hidden_group_size_x
      - .offset:         54
        .size:           2
        .value_kind:     hidden_group_size_y
      - .offset:         56
        .size:           2
        .value_kind:     hidden_group_size_z
      - .offset:         58
        .size:           2
        .value_kind:     hidden_remainder_x
      - .offset:         60
        .size:           2
        .value_kind:     hidden_remainder_y
      - .offset:         62
        .size:           2
        .value_kind:     hidden_remainder_z
      - .offset:         80
        .size:           8
        .value_kind:     hidden_global_offset_x
      - .offset:         88
        .size:           8
        .value_kind:     hidden_global_offset_y
      - .offset:         96
        .size:           8
        .value_kind:     hidden_global_offset_z
      - .offset:         104
        .size:           2
        .value_kind:     hidden_grid_dims
    .group_segment_fixed_size: 4096
    .kernarg_segment_align: 8
    .kernarg_segment_size: 296
    .language:       OpenCL C
    .language_version:
      - 2
      - 0
    .max_flat_workgroup_size: 512
    .name:           _ZN9rocsolver6v33100L31stedc_mergeValues_SortDZ_kernelIdEEviiPT_lS3_Pi
    .private_segment_fixed_size: 0
    .sgpr_count:     55
    .sgpr_spill_count: 0
    .symbol:         _ZN9rocsolver6v33100L31stedc_mergeValues_SortDZ_kernelIdEEviiPT_lS3_Pi.kd
    .uniform_work_group_size: 1
    .uses_dynamic_stack: false
    .vgpr_count:     40
    .vgpr_spill_count: 0
    .wavefront_size: 32
  - .args:
      - .offset:         0
        .size:           4
        .value_kind:     by_value
      - .offset:         4
        .size:           4
        .value_kind:     by_value
      - .address_space:  global
        .offset:         8
        .size:           8
        .value_kind:     global_buffer
      - .offset:         16
        .size:           8
        .value_kind:     by_value
      - .address_space:  global
        .offset:         24
        .size:           8
        .value_kind:     global_buffer
      - .address_space:  global
        .offset:         32
        .size:           8
        .value_kind:     global_buffer
      - .address_space:  global
        .offset:         40
        .size:           8
        .value_kind:     global_buffer
      - .offset:         48
        .size:           4
        .value_kind:     hidden_block_count_x
      - .offset:         52
        .size:           4
        .value_kind:     hidden_block_count_y
      - .offset:         56
        .size:           4
        .value_kind:     hidden_block_count_z
      - .offset:         60
        .size:           2
        .value_kind:     hidden_group_size_x
      - .offset:         62
        .size:           2
        .value_kind:     hidden_group_size_y
      - .offset:         64
        .size:           2
        .value_kind:     hidden_group_size_z
      - .offset:         66
        .size:           2
        .value_kind:     hidden_remainder_x
      - .offset:         68
        .size:           2
        .value_kind:     hidden_remainder_y
      - .offset:         70
        .size:           2
        .value_kind:     hidden_remainder_z
      - .offset:         88
        .size:           8
        .value_kind:     hidden_global_offset_x
      - .offset:         96
        .size:           8
        .value_kind:     hidden_global_offset_y
      - .offset:         104
        .size:           8
        .value_kind:     hidden_global_offset_z
      - .offset:         112
        .size:           2
        .value_kind:     hidden_grid_dims
    .group_segment_fixed_size: 0
    .kernarg_segment_align: 8
    .kernarg_segment_size: 304
    .language:       OpenCL C
    .language_version:
      - 2
      - 0
    .max_flat_workgroup_size: 512
    .name:           _ZN9rocsolver6v33100L30stedc_mergeValues_copyD_kernelIdEEviiPT_lS3_S3_Pi
    .private_segment_fixed_size: 0
    .sgpr_count:     28
    .sgpr_spill_count: 0
    .symbol:         _ZN9rocsolver6v33100L30stedc_mergeValues_copyD_kernelIdEEviiPT_lS3_S3_Pi.kd
    .uniform_work_group_size: 1
    .uses_dynamic_stack: false
    .vgpr_count:     4
    .vgpr_spill_count: 0
    .wavefront_size: 32
  - .args:
      - .offset:         0
        .size:           4
        .value_kind:     by_value
      - .address_space:  global
        .offset:         8
        .size:           8
        .value_kind:     global_buffer
      - .offset:         16
        .size:           4
        .value_kind:     by_value
      - .offset:         20
        .size:           4
        .value_kind:     by_value
      - .offset:         24
        .size:           8
        .value_kind:     by_value
      - .address_space:  global
        .offset:         32
        .size:           8
        .value_kind:     global_buffer
      - .offset:         40
        .size:           4
        .value_kind:     by_value
      - .offset:         44
        .size:           4
        .value_kind:     by_value
      - .offset:         48
        .size:           8
        .value_kind:     by_value
      - .offset:         56
        .size:           4
        .value_kind:     hidden_block_count_x
      - .offset:         60
        .size:           4
        .value_kind:     hidden_block_count_y
      - .offset:         64
        .size:           4
        .value_kind:     hidden_block_count_z
      - .offset:         68
        .size:           2
        .value_kind:     hidden_group_size_x
      - .offset:         70
        .size:           2
        .value_kind:     hidden_group_size_y
      - .offset:         72
        .size:           2
        .value_kind:     hidden_group_size_z
      - .offset:         74
        .size:           2
        .value_kind:     hidden_remainder_x
      - .offset:         76
        .size:           2
        .value_kind:     hidden_remainder_y
      - .offset:         78
        .size:           2
        .value_kind:     hidden_remainder_z
      - .offset:         96
        .size:           8
        .value_kind:     hidden_global_offset_x
      - .offset:         104
        .size:           8
        .value_kind:     hidden_global_offset_y
      - .offset:         112
        .size:           8
        .value_kind:     hidden_global_offset_z
      - .offset:         120
        .size:           2
        .value_kind:     hidden_grid_dims
    .group_segment_fixed_size: 0
    .kernarg_segment_align: 8
    .kernarg_segment_size: 312
    .language:       OpenCL C
    .language_version:
      - 2
      - 0
    .max_flat_workgroup_size: 512
    .name:           _ZN9rocsolver6v33100L11stedc_copyCIdPdS2_EEviT0_iilT1_iil
    .private_segment_fixed_size: 0
    .sgpr_count:     41
    .sgpr_spill_count: 0
    .symbol:         _ZN9rocsolver6v33100L11stedc_copyCIdPdS2_EEviT0_iilT1_iil.kd
    .uniform_work_group_size: 1
    .uses_dynamic_stack: false
    .vgpr_count:     49
    .vgpr_spill_count: 0
    .wavefront_size: 32
  - .args:
      - .offset:         0
        .size:           4
        .value_kind:     by_value
      - .address_space:  global
        .offset:         8
        .size:           8
        .value_kind:     global_buffer
      - .offset:         16
        .size:           4
        .value_kind:     by_value
      - .offset:         20
        .size:           4
        .value_kind:     by_value
      - .offset:         24
        .size:           8
        .value_kind:     by_value
      - .address_space:  global
        .offset:         32
        .size:           8
        .value_kind:     global_buffer
      - .offset:         40
        .size:           4
        .value_kind:     by_value
      - .offset:         44
        .size:           4
        .value_kind:     by_value
      - .offset:         48
        .size:           8
        .value_kind:     by_value
      - .address_space:  global
        .offset:         56
        .size:           8
        .value_kind:     global_buffer
      - .offset:         64
        .size:           4
        .value_kind:     hidden_block_count_x
      - .offset:         68
        .size:           4
        .value_kind:     hidden_block_count_y
      - .offset:         72
        .size:           4
        .value_kind:     hidden_block_count_z
      - .offset:         76
        .size:           2
        .value_kind:     hidden_group_size_x
      - .offset:         78
        .size:           2
        .value_kind:     hidden_group_size_y
      - .offset:         80
        .size:           2
        .value_kind:     hidden_group_size_z
      - .offset:         82
        .size:           2
        .value_kind:     hidden_remainder_x
      - .offset:         84
        .size:           2
        .value_kind:     hidden_remainder_y
      - .offset:         86
        .size:           2
        .value_kind:     hidden_remainder_z
      - .offset:         104
        .size:           8
        .value_kind:     hidden_global_offset_x
      - .offset:         112
        .size:           8
        .value_kind:     hidden_global_offset_y
      - .offset:         120
        .size:           8
        .value_kind:     hidden_global_offset_z
      - .offset:         128
        .size:           2
        .value_kind:     hidden_grid_dims
    .group_segment_fixed_size: 0
    .kernarg_segment_align: 8
    .kernarg_segment_size: 320
    .language:       OpenCL C
    .language_version:
      - 2
      - 0
    .max_flat_workgroup_size: 512
    .name:           _ZN9rocsolver6v33100L16stedc_reshuffleCIdPdS2_EEviT0_iilT1_iilPi
    .private_segment_fixed_size: 0
    .sgpr_count:     41
    .sgpr_spill_count: 0
    .symbol:         _ZN9rocsolver6v33100L16stedc_reshuffleCIdPdS2_EEviT0_iilT1_iilPi.kd
    .uniform_work_group_size: 1
    .uses_dynamic_stack: false
    .vgpr_count:     49
    .vgpr_spill_count: 0
    .wavefront_size: 32
  - .args:
      - .offset:         0
        .size:           4
        .value_kind:     by_value
      - .offset:         4
        .size:           4
        .value_kind:     by_value
      - .address_space:  global
        .offset:         8
        .size:           8
        .value_kind:     global_buffer
      - .offset:         16
        .size:           8
        .value_kind:     by_value
      - .address_space:  global
        .offset:         24
        .size:           8
        .value_kind:     global_buffer
      - .offset:         32
        .size:           8
        .value_kind:     by_value
      - .address_space:  global
        .offset:         40
        .size:           8
        .value_kind:     global_buffer
      - .address_space:  global
        .offset:         48
        .size:           8
        .value_kind:     global_buffer
      - .address_space:  global
        .offset:         56
        .size:           8
        .value_kind:     global_buffer
      - .offset:         64
        .size:           8
        .value_kind:     by_value
      - .offset:         72
        .size:           8
        .value_kind:     by_value
      - .offset:         80
        .size:           8
        .value_kind:     by_value
      - .offset:         88
        .size:           4
        .value_kind:     hidden_block_count_x
      - .offset:         92
        .size:           4
        .value_kind:     hidden_block_count_y
      - .offset:         96
        .size:           4
        .value_kind:     hidden_block_count_z
      - .offset:         100
        .size:           2
        .value_kind:     hidden_group_size_x
      - .offset:         102
        .size:           2
        .value_kind:     hidden_group_size_y
      - .offset:         104
        .size:           2
        .value_kind:     hidden_group_size_z
      - .offset:         106
        .size:           2
        .value_kind:     hidden_remainder_x
      - .offset:         108
        .size:           2
        .value_kind:     hidden_remainder_y
      - .offset:         110
        .size:           2
        .value_kind:     hidden_remainder_z
      - .offset:         128
        .size:           8
        .value_kind:     hidden_global_offset_x
      - .offset:         136
        .size:           8
        .value_kind:     hidden_global_offset_y
      - .offset:         144
        .size:           8
        .value_kind:     hidden_global_offset_z
      - .offset:         152
        .size:           2
        .value_kind:     hidden_grid_dims
    .group_segment_fixed_size: 0
    .kernarg_segment_align: 8
    .kernarg_segment_size: 344
    .language:       OpenCL C
    .language_version:
      - 2
      - 0
    .max_flat_workgroup_size: 4
    .name:           _ZN9rocsolver6v33100L30stedc_mergeValues_Solve_kernelIdEEviiPT_lS3_lS3_S3_PiS2_S2_S2_
    .private_segment_fixed_size: 0
    .sgpr_count:     30
    .sgpr_spill_count: 0
    .symbol:         _ZN9rocsolver6v33100L30stedc_mergeValues_Solve_kernelIdEEviiPT_lS3_lS3_S3_PiS2_S2_S2_.kd
    .uniform_work_group_size: 1
    .uses_dynamic_stack: false
    .vgpr_count:     74
    .vgpr_spill_count: 0
    .wavefront_size: 32
  - .args:
      - .offset:         0
        .size:           4
        .value_kind:     by_value
      - .offset:         4
        .size:           4
        .value_kind:     by_value
      - .address_space:  global
        .offset:         8
        .size:           8
        .value_kind:     global_buffer
      - .offset:         16
        .size:           8
        .value_kind:     by_value
      - .address_space:  global
        .offset:         24
        .size:           8
        .value_kind:     global_buffer
      - .offset:         32
        .size:           8
        .value_kind:     by_value
      - .address_space:  global
        .offset:         40
        .size:           8
        .value_kind:     global_buffer
      - .address_space:  global
        .offset:         48
        .size:           8
        .value_kind:     global_buffer
      - .address_space:  global
        .offset:         56
        .size:           8
        .value_kind:     global_buffer
      - .offset:         64
        .size:           8
        .value_kind:     by_value
      - .offset:         72
        .size:           8
        .value_kind:     by_value
      - .offset:         80
        .size:           8
        .value_kind:     by_value
      - .offset:         88
        .size:           4
        .value_kind:     hidden_block_count_x
      - .offset:         92
        .size:           4
        .value_kind:     hidden_block_count_y
      - .offset:         96
        .size:           4
        .value_kind:     hidden_block_count_z
      - .offset:         100
        .size:           2
        .value_kind:     hidden_group_size_x
      - .offset:         102
        .size:           2
        .value_kind:     hidden_group_size_y
      - .offset:         104
        .size:           2
        .value_kind:     hidden_group_size_z
      - .offset:         106
        .size:           2
        .value_kind:     hidden_remainder_x
      - .offset:         108
        .size:           2
        .value_kind:     hidden_remainder_y
      - .offset:         110
        .size:           2
        .value_kind:     hidden_remainder_z
      - .offset:         128
        .size:           8
        .value_kind:     hidden_global_offset_x
      - .offset:         136
        .size:           8
        .value_kind:     hidden_global_offset_y
      - .offset:         144
        .size:           8
        .value_kind:     hidden_global_offset_z
      - .offset:         152
        .size:           2
        .value_kind:     hidden_grid_dims
    .group_segment_fixed_size: 4096
    .kernarg_segment_align: 8
    .kernarg_segment_size: 344
    .language:       OpenCL C
    .language_version:
      - 2
      - 0
    .max_flat_workgroup_size: 512
    .name:           _ZN9rocsolver6v33100L32stedc_mergeValues_Rescale_kernelIdEEviiPT_lS3_lS3_S3_PiS2_S2_S2_
    .private_segment_fixed_size: 0
    .sgpr_count:     30
    .sgpr_spill_count: 0
    .symbol:         _ZN9rocsolver6v33100L32stedc_mergeValues_Rescale_kernelIdEEviiPT_lS3_lS3_S3_PiS2_S2_S2_.kd
    .uniform_work_group_size: 1
    .uses_dynamic_stack: false
    .vgpr_count:     18
    .vgpr_spill_count: 0
    .wavefront_size: 32
  - .args:
      - .offset:         0
        .size:           4
        .value_kind:     by_value
      - .offset:         4
        .size:           4
        .value_kind:     by_value
      - .address_space:  global
        .offset:         8
        .size:           8
        .value_kind:     global_buffer
      - .offset:         16
        .size:           4
        .value_kind:     by_value
      - .offset:         20
        .size:           4
        .value_kind:     by_value
      - .offset:         24
        .size:           8
        .value_kind:     by_value
      - .address_space:  global
        .offset:         32
        .size:           8
        .value_kind:     global_buffer
      - .address_space:  global
        .offset:         40
        .size:           8
        .value_kind:     global_buffer
      - .address_space:  global
        .offset:         48
        .size:           8
        .value_kind:     global_buffer
      - .offset:         56
        .size:           4
        .value_kind:     hidden_block_count_x
      - .offset:         60
        .size:           4
        .value_kind:     hidden_block_count_y
      - .offset:         64
        .size:           4
        .value_kind:     hidden_block_count_z
      - .offset:         68
        .size:           2
        .value_kind:     hidden_group_size_x
      - .offset:         70
        .size:           2
        .value_kind:     hidden_group_size_y
      - .offset:         72
        .size:           2
        .value_kind:     hidden_group_size_z
      - .offset:         74
        .size:           2
        .value_kind:     hidden_remainder_x
      - .offset:         76
        .size:           2
        .value_kind:     hidden_remainder_y
      - .offset:         78
        .size:           2
        .value_kind:     hidden_remainder_z
      - .offset:         96
        .size:           8
        .value_kind:     hidden_global_offset_x
      - .offset:         104
        .size:           8
        .value_kind:     hidden_global_offset_y
      - .offset:         112
        .size:           8
        .value_kind:     hidden_global_offset_z
      - .offset:         120
        .size:           2
        .value_kind:     hidden_grid_dims
    .group_segment_fixed_size: 4096
    .kernarg_segment_align: 8
    .kernarg_segment_size: 312
    .language:       OpenCL C
    .language_version:
      - 2
      - 0
    .max_flat_workgroup_size: 512
    .name:           _ZN9rocsolver6v33100L25stedc_mergeVectors_kernelILb1EdEEviiPT0_iilS3_S3_Pi
    .private_segment_fixed_size: 0
    .sgpr_count:     26
    .sgpr_spill_count: 0
    .symbol:         _ZN9rocsolver6v33100L25stedc_mergeVectors_kernelILb1EdEEviiPT0_iilS3_S3_Pi.kd
    .uniform_work_group_size: 1
    .uses_dynamic_stack: false
    .vgpr_count:     22
    .vgpr_spill_count: 0
    .wavefront_size: 32
  - .args:
      - .offset:         0
        .size:           4
        .value_kind:     by_value
      - .offset:         4
        .size:           4
        .value_kind:     by_value
      - .address_space:  global
        .offset:         8
        .size:           8
        .value_kind:     global_buffer
      - .offset:         16
        .size:           8
        .value_kind:     by_value
      - .address_space:  global
        .offset:         24
        .size:           8
        .value_kind:     global_buffer
      - .offset:         32
        .size:           4
        .value_kind:     by_value
      - .offset:         36
        .size:           4
        .value_kind:     by_value
      - .offset:         40
        .size:           8
        .value_kind:     by_value
      - .address_space:  global
        .offset:         48
        .size:           8
        .value_kind:     global_buffer
      - .address_space:  global
        .offset:         56
        .size:           8
        .value_kind:     global_buffer
      - .address_space:  global
        .offset:         64
        .size:           8
        .value_kind:     global_buffer
      - .offset:         72
        .size:           4
        .value_kind:     hidden_block_count_x
      - .offset:         76
        .size:           4
        .value_kind:     hidden_block_count_y
      - .offset:         80
        .size:           4
        .value_kind:     hidden_block_count_z
      - .offset:         84
        .size:           2
        .value_kind:     hidden_group_size_x
      - .offset:         86
        .size:           2
        .value_kind:     hidden_group_size_y
      - .offset:         88
        .size:           2
        .value_kind:     hidden_group_size_z
      - .offset:         90
        .size:           2
        .value_kind:     hidden_remainder_x
      - .offset:         92
        .size:           2
        .value_kind:     hidden_remainder_y
      - .offset:         94
        .size:           2
        .value_kind:     hidden_remainder_z
      - .offset:         112
        .size:           8
        .value_kind:     hidden_global_offset_x
      - .offset:         120
        .size:           8
        .value_kind:     hidden_global_offset_y
      - .offset:         128
        .size:           8
        .value_kind:     hidden_global_offset_z
      - .offset:         136
        .size:           2
        .value_kind:     hidden_grid_dims
    .group_segment_fixed_size: 0
    .kernarg_segment_align: 8
    .kernarg_segment_size: 328
    .language:       OpenCL C
    .language_version:
      - 2
      - 0
    .max_flat_workgroup_size: 512
    .name:           _ZN9rocsolver6v33100L24stedc_mergeUpdate_kernelIdEEviiPT_lS3_iilS3_S3_Pi
    .private_segment_fixed_size: 0
    .sgpr_count:     30
    .sgpr_spill_count: 0
    .symbol:         _ZN9rocsolver6v33100L24stedc_mergeUpdate_kernelIdEEviiPT_lS3_iilS3_S3_Pi.kd
    .uniform_work_group_size: 1
    .uses_dynamic_stack: false
    .vgpr_count:     4
    .vgpr_spill_count: 0
    .wavefront_size: 32
  - .args:
      - .offset:         0
        .size:           4
        .value_kind:     by_value
      - .offset:         4
        .size:           4
        .value_kind:     by_value
      - .offset:         8
        .size:           4
        .value_kind:     by_value
      - .address_space:  global
        .offset:         16
        .size:           8
        .value_kind:     global_buffer
      - .offset:         24
        .size:           4
        .value_kind:     by_value
      - .offset:         28
        .size:           4
        .value_kind:     by_value
      - .offset:         32
        .size:           8
        .value_kind:     by_value
      - .address_space:  global
        .offset:         40
        .size:           8
        .value_kind:     global_buffer
      - .offset:         48
        .size:           1
        .value_kind:     by_value
      - .offset:         52
        .size:           4
        .value_kind:     by_value
      - .offset:         56
        .size:           4
        .value_kind:     by_value
      - .offset:         64
        .size:           4
        .value_kind:     hidden_block_count_x
      - .offset:         68
        .size:           4
        .value_kind:     hidden_block_count_y
      - .offset:         72
        .size:           4
        .value_kind:     hidden_block_count_z
      - .offset:         76
        .size:           2
        .value_kind:     hidden_group_size_x
      - .offset:         78
        .size:           2
        .value_kind:     hidden_group_size_y
      - .offset:         80
        .size:           2
        .value_kind:     hidden_group_size_z
      - .offset:         82
        .size:           2
        .value_kind:     hidden_remainder_x
      - .offset:         84
        .size:           2
        .value_kind:     hidden_remainder_y
      - .offset:         86
        .size:           2
        .value_kind:     hidden_remainder_z
      - .offset:         104
        .size:           8
        .value_kind:     hidden_global_offset_x
      - .offset:         112
        .size:           8
        .value_kind:     hidden_global_offset_y
      - .offset:         120
        .size:           8
        .value_kind:     hidden_global_offset_z
      - .offset:         128
        .size:           2
        .value_kind:     hidden_grid_dims
    .group_segment_fixed_size: 0
    .kernarg_segment_align: 8
    .kernarg_segment_size: 320
    .language:       OpenCL C
    .language_version:
      - 2
      - 0
    .max_flat_workgroup_size: 1024
    .name:           _ZN9rocsolver6v33100L8copy_matIdPdNS0_7no_maskEEEvNS0_17copymat_directionEiiT0_iilPT_T1_13rocblas_fill_17rocblas_diagonal_
    .private_segment_fixed_size: 0
    .sgpr_count:     20
    .sgpr_spill_count: 0
    .symbol:         _ZN9rocsolver6v33100L8copy_matIdPdNS0_7no_maskEEEvNS0_17copymat_directionEiiT0_iilPT_T1_13rocblas_fill_17rocblas_diagonal_.kd
    .uniform_work_group_size: 1
    .uses_dynamic_stack: false
    .vgpr_count:     4
    .vgpr_spill_count: 0
    .wavefront_size: 32
  - .args:
      - .offset:         0
        .size:           4
        .value_kind:     by_value
      - .address_space:  global
        .offset:         8
        .size:           8
        .value_kind:     global_buffer
      - .offset:         16
        .size:           8
        .value_kind:     by_value
      - .address_space:  global
        .offset:         24
        .size:           8
        .value_kind:     global_buffer
      - .offset:         32
        .size:           8
        .value_kind:     by_value
      - .offset:         40
        .size:           4
        .value_kind:     hidden_block_count_x
      - .offset:         44
        .size:           4
        .value_kind:     hidden_block_count_y
      - .offset:         48
        .size:           4
        .value_kind:     hidden_block_count_z
      - .offset:         52
        .size:           2
        .value_kind:     hidden_group_size_x
      - .offset:         54
        .size:           2
        .value_kind:     hidden_group_size_y
      - .offset:         56
        .size:           2
        .value_kind:     hidden_group_size_z
      - .offset:         58
        .size:           2
        .value_kind:     hidden_remainder_x
      - .offset:         60
        .size:           2
        .value_kind:     hidden_remainder_y
      - .offset:         62
        .size:           2
        .value_kind:     hidden_remainder_z
      - .offset:         80
        .size:           8
        .value_kind:     hidden_global_offset_x
      - .offset:         88
        .size:           8
        .value_kind:     hidden_global_offset_y
      - .offset:         96
        .size:           8
        .value_kind:     hidden_global_offset_z
      - .offset:         104
        .size:           2
        .value_kind:     hidden_grid_dims
    .group_segment_fixed_size: 0
    .kernarg_segment_align: 8
    .kernarg_segment_size: 296
    .language:       OpenCL C
    .language_version:
      - 2
      - 0
    .max_flat_workgroup_size: 512
    .name:           _ZN9rocsolver6v33100L11stedc_copyDIdEEviPT_lS3_l
    .private_segment_fixed_size: 0
    .sgpr_count:     41
    .sgpr_spill_count: 0
    .symbol:         _ZN9rocsolver6v33100L11stedc_copyDIdEEviPT_lS3_l.kd
    .uniform_work_group_size: 1
    .uses_dynamic_stack: false
    .vgpr_count:     49
    .vgpr_spill_count: 0
    .wavefront_size: 32
  - .args:
      - .offset:         0
        .size:           4
        .value_kind:     by_value
      - .address_space:  global
        .offset:         8
        .size:           8
        .value_kind:     global_buffer
      - .offset:         16
        .size:           8
        .value_kind:     by_value
      - .address_space:  global
        .offset:         24
        .size:           8
        .value_kind:     global_buffer
      - .offset:         32
        .size:           8
        .value_kind:     by_value
      - .address_space:  global
        .offset:         40
        .size:           8
        .value_kind:     global_buffer
      - .offset:         48
        .size:           4
        .value_kind:     by_value
      - .offset:         52
        .size:           4
        .value_kind:     by_value
      - .offset:         56
        .size:           8
        .value_kind:     by_value
      - .address_space:  global
        .offset:         64
        .size:           8
        .value_kind:     global_buffer
      - .offset:         72
        .size:           4
        .value_kind:     by_value
      - .offset:         76
        .size:           4
        .value_kind:     by_value
      - .offset:         80
        .size:           8
        .value_kind:     by_value
      - .offset:         88
        .size:           4
        .value_kind:     hidden_block_count_x
      - .offset:         92
        .size:           4
        .value_kind:     hidden_block_count_y
      - .offset:         96
        .size:           4
        .value_kind:     hidden_block_count_z
      - .offset:         100
        .size:           2
        .value_kind:     hidden_group_size_x
      - .offset:         102
        .size:           2
        .value_kind:     hidden_group_size_y
      - .offset:         104
        .size:           2
        .value_kind:     hidden_group_size_z
      - .offset:         106
        .size:           2
        .value_kind:     hidden_remainder_x
      - .offset:         108
        .size:           2
        .value_kind:     hidden_remainder_y
      - .offset:         110
        .size:           2
        .value_kind:     hidden_remainder_z
      - .offset:         128
        .size:           8
        .value_kind:     hidden_global_offset_x
      - .offset:         136
        .size:           8
        .value_kind:     hidden_global_offset_y
      - .offset:         144
        .size:           8
        .value_kind:     hidden_global_offset_z
      - .offset:         152
        .size:           2
        .value_kind:     hidden_grid_dims
    .group_segment_fixed_size: 2048
    .kernarg_segment_align: 8
    .kernarg_segment_size: 344
    .language:       OpenCL C
    .language_version:
      - 2
      - 0
    .max_flat_workgroup_size: 512
    .name:           _ZN9rocsolver6v33100L10stedc_sortIddPdS2_EEviPT0_lS4_lT1_iilT2_iil
    .private_segment_fixed_size: 0
    .sgpr_count:     58
    .sgpr_spill_count: 0
    .symbol:         _ZN9rocsolver6v33100L10stedc_sortIddPdS2_EEviPT0_lS4_lT1_iilT2_iil.kd
    .uniform_work_group_size: 1
    .uses_dynamic_stack: false
    .vgpr_count:     68
    .vgpr_spill_count: 0
    .wavefront_size: 32
  - .args:
      - .address_space:  global
        .offset:         0
        .size:           8
        .value_kind:     global_buffer
      - .offset:         8
        .size:           8
        .value_kind:     by_value
      - .offset:         16
        .size:           4
        .value_kind:     by_value
      - .offset:         20
        .size:           4
        .value_kind:     by_value
      - .offset:         24
        .size:           4
        .value_kind:     hidden_block_count_x
      - .offset:         28
        .size:           4
        .value_kind:     hidden_block_count_y
      - .offset:         32
        .size:           4
        .value_kind:     hidden_block_count_z
      - .offset:         36
        .size:           2
        .value_kind:     hidden_group_size_x
      - .offset:         38
        .size:           2
        .value_kind:     hidden_group_size_y
      - .offset:         40
        .size:           2
        .value_kind:     hidden_group_size_z
      - .offset:         42
        .size:           2
        .value_kind:     hidden_remainder_x
      - .offset:         44
        .size:           2
        .value_kind:     hidden_remainder_y
      - .offset:         46
        .size:           2
        .value_kind:     hidden_remainder_z
      - .offset:         64
        .size:           8
        .value_kind:     hidden_global_offset_x
      - .offset:         72
        .size:           8
        .value_kind:     hidden_global_offset_y
      - .offset:         80
        .size:           8
        .value_kind:     hidden_global_offset_z
      - .offset:         88
        .size:           2
        .value_kind:     hidden_grid_dims
    .group_segment_fixed_size: 0
    .kernarg_segment_align: 8
    .kernarg_segment_size: 280
    .language:       OpenCL C
    .language_version:
      - 2
      - 0
    .max_flat_workgroup_size: 1024
    .name:           _ZN9rocsolver6v33100L16reset_batch_infoI19rocblas_complex_numIfEiiPS3_EEvT2_lT0_T1_
    .private_segment_fixed_size: 0
    .sgpr_count:     14
    .sgpr_spill_count: 0
    .symbol:         _ZN9rocsolver6v33100L16reset_batch_infoI19rocblas_complex_numIfEiiPS3_EEvT2_lT0_T1_.kd
    .uniform_work_group_size: 1
    .uses_dynamic_stack: false
    .vgpr_count:     4
    .vgpr_spill_count: 0
    .wavefront_size: 32
  - .args:
      - .offset:         0
        .size:           4
        .value_kind:     by_value
      - .offset:         4
        .size:           4
        .value_kind:     by_value
      - .address_space:  global
        .offset:         8
        .size:           8
        .value_kind:     global_buffer
      - .offset:         16
        .size:           4
        .value_kind:     by_value
      - .offset:         20
        .size:           4
        .value_kind:     by_value
      - .offset:         24
        .size:           8
        .value_kind:     by_value
      - .offset:         32
        .size:           4
        .value_kind:     hidden_block_count_x
      - .offset:         36
        .size:           4
        .value_kind:     hidden_block_count_y
      - .offset:         40
        .size:           4
        .value_kind:     hidden_block_count_z
      - .offset:         44
        .size:           2
        .value_kind:     hidden_group_size_x
      - .offset:         46
        .size:           2
        .value_kind:     hidden_group_size_y
      - .offset:         48
        .size:           2
        .value_kind:     hidden_group_size_z
      - .offset:         50
        .size:           2
        .value_kind:     hidden_remainder_x
      - .offset:         52
        .size:           2
        .value_kind:     hidden_remainder_y
      - .offset:         54
        .size:           2
        .value_kind:     hidden_remainder_z
      - .offset:         72
        .size:           8
        .value_kind:     hidden_global_offset_x
      - .offset:         80
        .size:           8
        .value_kind:     hidden_global_offset_y
      - .offset:         88
        .size:           8
        .value_kind:     hidden_global_offset_z
      - .offset:         96
        .size:           2
        .value_kind:     hidden_grid_dims
    .group_segment_fixed_size: 0
    .kernarg_segment_align: 8
    .kernarg_segment_size: 288
    .language:       OpenCL C
    .language_version:
      - 2
      - 0
    .max_flat_workgroup_size: 1024
    .name:           _ZN9rocsolver6v33100L10init_identI19rocblas_complex_numIfEPS3_EEviiT0_iil
    .private_segment_fixed_size: 0
    .sgpr_count:     13
    .sgpr_spill_count: 0
    .symbol:         _ZN9rocsolver6v33100L10init_identI19rocblas_complex_numIfEPS3_EEviiT0_iil.kd
    .uniform_work_group_size: 1
    .uses_dynamic_stack: false
    .vgpr_count:     4
    .vgpr_spill_count: 0
    .wavefront_size: 32
  - .args:
      - .offset:         0
        .size:           4
        .value_kind:     by_value
      - .offset:         4
        .size:           4
        .value_kind:     by_value
      - .offset:         8
        .size:           4
        .value_kind:     by_value
      - .offset:         12
        .size:           4
        .value_kind:     by_value
      - .offset:         16
        .size:           4
        .value_kind:     by_value
      - .address_space:  global
        .offset:         24
        .size:           8
        .value_kind:     global_buffer
      - .offset:         32
        .size:           8
        .value_kind:     by_value
      - .address_space:  global
        .offset:         40
        .size:           8
        .value_kind:     global_buffer
      - .offset:         48
        .size:           8
        .value_kind:     by_value
      - .address_space:  global
        .offset:         56
        .size:           8
        .value_kind:     global_buffer
      - .offset:         64
        .size:           8
        .value_kind:     by_value
      - .offset:         72
        .size:           4
        .value_kind:     by_value
      - .offset:         80
        .size:           8
        .value_kind:     by_value
      - .offset:         88
        .size:           4
        .value_kind:     by_value
      - .offset:         96
        .size:           4
        .value_kind:     hidden_block_count_x
      - .offset:         100
        .size:           4
        .value_kind:     hidden_block_count_y
      - .offset:         104
        .size:           4
        .value_kind:     hidden_block_count_z
      - .offset:         108
        .size:           2
        .value_kind:     hidden_group_size_x
      - .offset:         110
        .size:           2
        .value_kind:     hidden_group_size_y
      - .offset:         112
        .size:           2
        .value_kind:     hidden_group_size_z
      - .offset:         114
        .size:           2
        .value_kind:     hidden_remainder_x
      - .offset:         116
        .size:           2
        .value_kind:     hidden_remainder_y
      - .offset:         118
        .size:           2
        .value_kind:     hidden_remainder_z
      - .offset:         136
        .size:           8
        .value_kind:     hidden_global_offset_x
      - .offset:         144
        .size:           8
        .value_kind:     hidden_global_offset_y
      - .offset:         152
        .size:           8
        .value_kind:     hidden_global_offset_z
      - .offset:         160
        .size:           2
        .value_kind:     hidden_grid_dims
    .group_segment_fixed_size: 0
    .kernarg_segment_align: 8
    .kernarg_segment_size: 352
    .language:       OpenCL C
    .language_version:
      - 2
      - 0
    .max_flat_workgroup_size: 64
    .name:           _ZN9rocsolver6v33100L11lasr_kernelI19rocblas_complex_numIfEfPS3_iEEv13rocblas_side_14rocblas_pivot_15rocblas_direct_T2_S8_PT0_lSA_lT1_lS8_lS8_
    .private_segment_fixed_size: 0
    .sgpr_count:     93
    .sgpr_spill_count: 0
    .symbol:         _ZN9rocsolver6v33100L11lasr_kernelI19rocblas_complex_numIfEfPS3_iEEv13rocblas_side_14rocblas_pivot_15rocblas_direct_T2_S8_PT0_lSA_lT1_lS8_lS8_.kd
    .uniform_work_group_size: 1
    .uses_dynamic_stack: false
    .vgpr_count:     44
    .vgpr_spill_count: 0
    .wavefront_size: 32
  - .args:
      - .offset:         0
        .size:           4
        .value_kind:     by_value
      - .address_space:  global
        .offset:         8
        .size:           8
        .value_kind:     global_buffer
      - .offset:         16
        .size:           4
        .value_kind:     by_value
      - .address_space:  global
        .offset:         24
        .size:           8
        .value_kind:     global_buffer
      - .offset:         32
        .size:           4
        .value_kind:     by_value
      - .offset:         40
        .size:           4
        .value_kind:     hidden_block_count_x
      - .offset:         44
        .size:           4
        .value_kind:     hidden_block_count_y
      - .offset:         48
        .size:           4
        .value_kind:     hidden_block_count_z
      - .offset:         52
        .size:           2
        .value_kind:     hidden_group_size_x
      - .offset:         54
        .size:           2
        .value_kind:     hidden_group_size_y
      - .offset:         56
        .size:           2
        .value_kind:     hidden_group_size_z
      - .offset:         58
        .size:           2
        .value_kind:     hidden_remainder_x
      - .offset:         60
        .size:           2
        .value_kind:     hidden_remainder_y
      - .offset:         62
        .size:           2
        .value_kind:     hidden_remainder_z
      - .offset:         80
        .size:           8
        .value_kind:     hidden_global_offset_x
      - .offset:         88
        .size:           8
        .value_kind:     hidden_global_offset_y
      - .offset:         96
        .size:           8
        .value_kind:     hidden_global_offset_z
      - .offset:         104
        .size:           2
        .value_kind:     hidden_grid_dims
    .group_segment_fixed_size: 0
    .kernarg_segment_align: 8
    .kernarg_segment_size: 296
    .language:       OpenCL C
    .language_version:
      - 2
      - 0
    .max_flat_workgroup_size: 1024
    .name:           _ZN9rocsolver6v33100L11swap_kernelI19rocblas_complex_numIfEiEEvT0_PT_S4_S6_S4_
    .private_segment_fixed_size: 0
    .sgpr_count:     18
    .sgpr_spill_count: 0
    .symbol:         _ZN9rocsolver6v33100L11swap_kernelI19rocblas_complex_numIfEiEEvT0_PT_S4_S6_S4_.kd
    .uniform_work_group_size: 1
    .uses_dynamic_stack: false
    .vgpr_count:     12
    .vgpr_spill_count: 0
    .wavefront_size: 32
  - .args:
      - .offset:         0
        .size:           4
        .value_kind:     by_value
      - .address_space:  global
        .offset:         8
        .size:           8
        .value_kind:     global_buffer
      - .offset:         16
        .size:           8
        .value_kind:     by_value
      - .address_space:  global
        .offset:         24
        .size:           8
        .value_kind:     global_buffer
      - .offset:         32
        .size:           8
        .value_kind:     by_value
      - .address_space:  global
        .offset:         40
        .size:           8
        .value_kind:     global_buffer
      - .offset:         48
        .size:           4
        .value_kind:     by_value
      - .offset:         52
        .size:           4
        .value_kind:     by_value
      - .offset:         56
        .size:           8
        .value_kind:     by_value
      - .address_space:  global
        .offset:         64
        .size:           8
        .value_kind:     global_buffer
      - .address_space:  global
        .offset:         72
        .size:           8
        .value_kind:     global_buffer
      - .offset:         80
        .size:           4
        .value_kind:     by_value
      - .offset:         84
        .size:           4
        .value_kind:     by_value
      - .offset:         88
        .size:           4
        .value_kind:     by_value
      - .offset:         92
        .size:           4
        .value_kind:     by_value
      - .offset:         96
        .size:           4
        .value_kind:     hidden_block_count_x
      - .offset:         100
        .size:           4
        .value_kind:     hidden_block_count_y
      - .offset:         104
        .size:           4
        .value_kind:     hidden_block_count_z
      - .offset:         108
        .size:           2
        .value_kind:     hidden_group_size_x
      - .offset:         110
        .size:           2
        .value_kind:     hidden_group_size_y
      - .offset:         112
        .size:           2
        .value_kind:     hidden_group_size_z
      - .offset:         114
        .size:           2
        .value_kind:     hidden_remainder_x
      - .offset:         116
        .size:           2
        .value_kind:     hidden_remainder_y
      - .offset:         118
        .size:           2
        .value_kind:     hidden_remainder_z
      - .offset:         136
        .size:           8
        .value_kind:     hidden_global_offset_x
      - .offset:         144
        .size:           8
        .value_kind:     hidden_global_offset_y
      - .offset:         152
        .size:           8
        .value_kind:     hidden_global_offset_z
      - .offset:         160
        .size:           2
        .value_kind:     hidden_grid_dims
    .group_segment_fixed_size: 36
    .kernarg_segment_align: 8
    .kernarg_segment_size: 352
    .language:       OpenCL C
    .language_version:
      - 2
      - 0
    .max_flat_workgroup_size: 1024
    .name:           _ZN9rocsolver6v33100L12steqr_kernelI19rocblas_complex_numIfEfPS3_EEviPT0_lS6_lT1_iilPiS6_iS5_S5_S5_
    .private_segment_fixed_size: 0
    .sgpr_count:     86
    .sgpr_spill_count: 0
    .symbol:         _ZN9rocsolver6v33100L12steqr_kernelI19rocblas_complex_numIfEfPS3_EEviPT0_lS6_lT1_iilPiS6_iS5_S5_S5_.kd
    .uniform_work_group_size: 1
    .uses_dynamic_stack: false
    .vgpr_count:     62
    .vgpr_spill_count: 0
    .wavefront_size: 32
  - .args:
      - .offset:         0
        .size:           4
        .value_kind:     by_value
      - .offset:         4
        .size:           4
        .value_kind:     by_value
      - .offset:         8
        .size:           4
        .value_kind:     by_value
      - .address_space:  global
        .offset:         16
        .size:           8
        .value_kind:     global_buffer
      - .offset:         24
        .size:           4
        .value_kind:     by_value
      - .offset:         28
        .size:           4
        .value_kind:     by_value
      - .offset:         32
        .size:           8
        .value_kind:     by_value
      - .address_space:  global
        .offset:         40
        .size:           8
        .value_kind:     global_buffer
      - .offset:         48
        .size:           4
        .value_kind:     by_value
      - .offset:         52
        .size:           4
        .value_kind:     by_value
      - .offset:         56
        .size:           4
        .value_kind:     hidden_block_count_x
      - .offset:         60
        .size:           4
        .value_kind:     hidden_block_count_y
      - .offset:         64
        .size:           4
        .value_kind:     hidden_block_count_z
      - .offset:         68
        .size:           2
        .value_kind:     hidden_group_size_x
      - .offset:         70
        .size:           2
        .value_kind:     hidden_group_size_y
      - .offset:         72
        .size:           2
        .value_kind:     hidden_group_size_z
      - .offset:         74
        .size:           2
        .value_kind:     hidden_remainder_x
      - .offset:         76
        .size:           2
        .value_kind:     hidden_remainder_y
      - .offset:         78
        .size:           2
        .value_kind:     hidden_remainder_z
      - .offset:         96
        .size:           8
        .value_kind:     hidden_global_offset_x
      - .offset:         104
        .size:           8
        .value_kind:     hidden_global_offset_y
      - .offset:         112
        .size:           8
        .value_kind:     hidden_global_offset_z
      - .offset:         120
        .size:           2
        .value_kind:     hidden_grid_dims
    .group_segment_fixed_size: 0
    .kernarg_segment_align: 8
    .kernarg_segment_size: 312
    .language:       OpenCL C
    .language_version:
      - 2
      - 0
    .max_flat_workgroup_size: 1024
    .name:           _ZN9rocsolver6v33100L8copy_matI19rocblas_complex_numIfEfLb0EPS3_TnNSt9enable_ifIX18rocblas_is_complexIT_EEiE4typeELi0EEEvNS0_17copymat_directionEiiT2_iilPT0_13rocblas_fill_17rocblas_diagonal_
    .private_segment_fixed_size: 0
    .sgpr_count:     22
    .sgpr_spill_count: 0
    .symbol:         _ZN9rocsolver6v33100L8copy_matI19rocblas_complex_numIfEfLb0EPS3_TnNSt9enable_ifIX18rocblas_is_complexIT_EEiE4typeELi0EEEvNS0_17copymat_directionEiiT2_iilPT0_13rocblas_fill_17rocblas_diagonal_.kd
    .uniform_work_group_size: 1
    .uses_dynamic_stack: false
    .vgpr_count:     6
    .vgpr_spill_count: 0
    .wavefront_size: 32
  - .args:
      - .offset:         0
        .size:           4
        .value_kind:     by_value
      - .offset:         4
        .size:           4
        .value_kind:     by_value
      - .address_space:  global
        .offset:         8
        .size:           8
        .value_kind:     global_buffer
      - .offset:         16
        .size:           4
        .value_kind:     by_value
      - .offset:         20
        .size:           4
        .value_kind:     by_value
      - .offset:         24
        .size:           8
        .value_kind:     by_value
      - .offset:         32
        .size:           4
        .value_kind:     by_value
      - .offset:         40
        .size:           4
        .value_kind:     hidden_block_count_x
      - .offset:         44
        .size:           4
        .value_kind:     hidden_block_count_y
      - .offset:         48
        .size:           4
        .value_kind:     hidden_block_count_z
      - .offset:         52
        .size:           2
        .value_kind:     hidden_group_size_x
      - .offset:         54
        .size:           2
        .value_kind:     hidden_group_size_y
      - .offset:         56
        .size:           2
        .value_kind:     hidden_group_size_z
      - .offset:         58
        .size:           2
        .value_kind:     hidden_remainder_x
      - .offset:         60
        .size:           2
        .value_kind:     hidden_remainder_y
      - .offset:         62
        .size:           2
        .value_kind:     hidden_remainder_z
      - .offset:         80
        .size:           8
        .value_kind:     hidden_global_offset_x
      - .offset:         88
        .size:           8
        .value_kind:     hidden_global_offset_y
      - .offset:         96
        .size:           8
        .value_kind:     hidden_global_offset_z
      - .offset:         104
        .size:           2
        .value_kind:     hidden_grid_dims
    .group_segment_fixed_size: 0
    .kernarg_segment_align: 8
    .kernarg_segment_size: 296
    .language:       OpenCL C
    .language_version:
      - 2
      - 0
    .max_flat_workgroup_size: 1024
    .name:           _ZN9rocsolver6v33100L8set_zeroI19rocblas_complex_numIfEPS3_EEviiT0_iil13rocblas_fill_
    .private_segment_fixed_size: 0
    .sgpr_count:     14
    .sgpr_spill_count: 0
    .symbol:         _ZN9rocsolver6v33100L8set_zeroI19rocblas_complex_numIfEPS3_EEviiT0_iil13rocblas_fill_.kd
    .uniform_work_group_size: 1
    .uses_dynamic_stack: false
    .vgpr_count:     3
    .vgpr_spill_count: 0
    .wavefront_size: 32
  - .args:
      - .offset:         0
        .size:           4
        .value_kind:     by_value
      - .offset:         4
        .size:           4
        .value_kind:     by_value
      - .offset:         8
        .size:           4
        .value_kind:     by_value
      - .address_space:  global
        .offset:         16
        .size:           8
        .value_kind:     global_buffer
      - .offset:         24
        .size:           4
        .value_kind:     by_value
      - .offset:         28
        .size:           4
        .value_kind:     by_value
      - .offset:         32
        .size:           8
        .value_kind:     by_value
      - .address_space:  global
        .offset:         40
        .size:           8
        .value_kind:     global_buffer
      - .offset:         48
        .size:           4
        .value_kind:     by_value
      - .offset:         52
        .size:           4
        .value_kind:     by_value
      - .offset:         56
        .size:           4
        .value_kind:     hidden_block_count_x
      - .offset:         60
        .size:           4
        .value_kind:     hidden_block_count_y
      - .offset:         64
        .size:           4
        .value_kind:     hidden_block_count_z
      - .offset:         68
        .size:           2
        .value_kind:     hidden_group_size_x
      - .offset:         70
        .size:           2
        .value_kind:     hidden_group_size_y
      - .offset:         72
        .size:           2
        .value_kind:     hidden_group_size_z
      - .offset:         74
        .size:           2
        .value_kind:     hidden_remainder_x
      - .offset:         76
        .size:           2
        .value_kind:     hidden_remainder_y
      - .offset:         78
        .size:           2
        .value_kind:     hidden_remainder_z
      - .offset:         96
        .size:           8
        .value_kind:     hidden_global_offset_x
      - .offset:         104
        .size:           8
        .value_kind:     hidden_global_offset_y
      - .offset:         112
        .size:           8
        .value_kind:     hidden_global_offset_z
      - .offset:         120
        .size:           2
        .value_kind:     hidden_grid_dims
    .group_segment_fixed_size: 0
    .kernarg_segment_align: 8
    .kernarg_segment_size: 312
    .language:       OpenCL C
    .language_version:
      - 2
      - 0
    .max_flat_workgroup_size: 1024
    .name:           _ZN9rocsolver6v33100L8copy_matI19rocblas_complex_numIfEfLb1EPS3_TnNSt9enable_ifIX18rocblas_is_complexIT_EEiE4typeELi0EEEvNS0_17copymat_directionEiiT2_iilPT0_13rocblas_fill_17rocblas_diagonal_
    .private_segment_fixed_size: 0
    .sgpr_count:     22
    .sgpr_spill_count: 0
    .symbol:         _ZN9rocsolver6v33100L8copy_matI19rocblas_complex_numIfEfLb1EPS3_TnNSt9enable_ifIX18rocblas_is_complexIT_EEiE4typeELi0EEEvNS0_17copymat_directionEiiT2_iilPT0_13rocblas_fill_17rocblas_diagonal_.kd
    .uniform_work_group_size: 1
    .uses_dynamic_stack: false
    .vgpr_count:     6
    .vgpr_spill_count: 0
    .wavefront_size: 32
  - .args:
      - .offset:         0
        .size:           4
        .value_kind:     by_value
      - .address_space:  global
        .offset:         8
        .size:           8
        .value_kind:     global_buffer
      - .offset:         16
        .size:           4
        .value_kind:     by_value
      - .offset:         20
        .size:           4
        .value_kind:     by_value
      - .offset:         24
        .size:           8
        .value_kind:     by_value
      - .address_space:  global
        .offset:         32
        .size:           8
        .value_kind:     global_buffer
      - .offset:         40
        .size:           4
        .value_kind:     by_value
      - .offset:         44
        .size:           4
        .value_kind:     by_value
      - .offset:         48
        .size:           8
        .value_kind:     by_value
      - .offset:         56
        .size:           4
        .value_kind:     hidden_block_count_x
      - .offset:         60
        .size:           4
        .value_kind:     hidden_block_count_y
      - .offset:         64
        .size:           4
        .value_kind:     hidden_block_count_z
      - .offset:         68
        .size:           2
        .value_kind:     hidden_group_size_x
      - .offset:         70
        .size:           2
        .value_kind:     hidden_group_size_y
      - .offset:         72
        .size:           2
        .value_kind:     hidden_group_size_z
      - .offset:         74
        .size:           2
        .value_kind:     hidden_remainder_x
      - .offset:         76
        .size:           2
        .value_kind:     hidden_remainder_y
      - .offset:         78
        .size:           2
        .value_kind:     hidden_remainder_z
      - .offset:         96
        .size:           8
        .value_kind:     hidden_global_offset_x
      - .offset:         104
        .size:           8
        .value_kind:     hidden_global_offset_y
      - .offset:         112
        .size:           8
        .value_kind:     hidden_global_offset_z
      - .offset:         120
        .size:           2
        .value_kind:     hidden_grid_dims
    .group_segment_fixed_size: 0
    .kernarg_segment_align: 8
    .kernarg_segment_size: 312
    .language:       OpenCL C
    .language_version:
      - 2
      - 0
    .max_flat_workgroup_size: 512
    .name:           _ZN9rocsolver6v33100L11stedc_copyCI19rocblas_complex_numIfEPS3_S4_EEviT0_iilT1_iil
    .private_segment_fixed_size: 0
    .sgpr_count:     41
    .sgpr_spill_count: 0
    .symbol:         _ZN9rocsolver6v33100L11stedc_copyCI19rocblas_complex_numIfEPS3_S4_EEviT0_iilT1_iil.kd
    .uniform_work_group_size: 1
    .uses_dynamic_stack: false
    .vgpr_count:     49
    .vgpr_spill_count: 0
    .wavefront_size: 32
  - .args:
      - .offset:         0
        .size:           4
        .value_kind:     by_value
      - .address_space:  global
        .offset:         8
        .size:           8
        .value_kind:     global_buffer
      - .offset:         16
        .size:           8
        .value_kind:     by_value
      - .address_space:  global
        .offset:         24
        .size:           8
        .value_kind:     global_buffer
      - .offset:         32
        .size:           8
        .value_kind:     by_value
      - .address_space:  global
        .offset:         40
        .size:           8
        .value_kind:     global_buffer
      - .offset:         48
        .size:           4
        .value_kind:     by_value
      - .offset:         52
        .size:           4
        .value_kind:     by_value
      - .offset:         56
        .size:           8
        .value_kind:     by_value
      - .address_space:  global
        .offset:         64
        .size:           8
        .value_kind:     global_buffer
      - .offset:         72
        .size:           4
        .value_kind:     by_value
      - .offset:         76
        .size:           4
        .value_kind:     by_value
      - .offset:         80
        .size:           8
        .value_kind:     by_value
      - .offset:         88
        .size:           4
        .value_kind:     hidden_block_count_x
      - .offset:         92
        .size:           4
        .value_kind:     hidden_block_count_y
      - .offset:         96
        .size:           4
        .value_kind:     hidden_block_count_z
      - .offset:         100
        .size:           2
        .value_kind:     hidden_group_size_x
      - .offset:         102
        .size:           2
        .value_kind:     hidden_group_size_y
      - .offset:         104
        .size:           2
        .value_kind:     hidden_group_size_z
      - .offset:         106
        .size:           2
        .value_kind:     hidden_remainder_x
      - .offset:         108
        .size:           2
        .value_kind:     hidden_remainder_y
      - .offset:         110
        .size:           2
        .value_kind:     hidden_remainder_z
      - .offset:         128
        .size:           8
        .value_kind:     hidden_global_offset_x
      - .offset:         136
        .size:           8
        .value_kind:     hidden_global_offset_y
      - .offset:         144
        .size:           8
        .value_kind:     hidden_global_offset_z
      - .offset:         152
        .size:           2
        .value_kind:     hidden_grid_dims
    .group_segment_fixed_size: 2048
    .kernarg_segment_align: 8
    .kernarg_segment_size: 344
    .language:       OpenCL C
    .language_version:
      - 2
      - 0
    .max_flat_workgroup_size: 512
    .name:           _ZN9rocsolver6v33100L10stedc_sortI19rocblas_complex_numIfEfPS3_S4_EEviPT0_lS6_lT1_iilT2_iil
    .private_segment_fixed_size: 0
    .sgpr_count:     57
    .sgpr_spill_count: 0
    .symbol:         _ZN9rocsolver6v33100L10stedc_sortI19rocblas_complex_numIfEfPS3_S4_EEviPT0_lS6_lT1_iilT2_iil.kd
    .uniform_work_group_size: 1
    .uses_dynamic_stack: false
    .vgpr_count:     51
    .vgpr_spill_count: 0
    .wavefront_size: 32
  - .args:
      - .address_space:  global
        .offset:         0
        .size:           8
        .value_kind:     global_buffer
      - .offset:         8
        .size:           8
        .value_kind:     by_value
      - .offset:         16
        .size:           4
        .value_kind:     by_value
      - .offset:         20
        .size:           4
        .value_kind:     by_value
      - .offset:         24
        .size:           4
        .value_kind:     hidden_block_count_x
      - .offset:         28
        .size:           4
        .value_kind:     hidden_block_count_y
      - .offset:         32
        .size:           4
        .value_kind:     hidden_block_count_z
      - .offset:         36
        .size:           2
        .value_kind:     hidden_group_size_x
      - .offset:         38
        .size:           2
        .value_kind:     hidden_group_size_y
      - .offset:         40
        .size:           2
        .value_kind:     hidden_group_size_z
      - .offset:         42
        .size:           2
        .value_kind:     hidden_remainder_x
      - .offset:         44
        .size:           2
        .value_kind:     hidden_remainder_y
      - .offset:         46
        .size:           2
        .value_kind:     hidden_remainder_z
      - .offset:         64
        .size:           8
        .value_kind:     hidden_global_offset_x
      - .offset:         72
        .size:           8
        .value_kind:     hidden_global_offset_y
      - .offset:         80
        .size:           8
        .value_kind:     hidden_global_offset_z
      - .offset:         88
        .size:           2
        .value_kind:     hidden_grid_dims
    .group_segment_fixed_size: 0
    .kernarg_segment_align: 8
    .kernarg_segment_size: 280
    .language:       OpenCL C
    .language_version:
      - 2
      - 0
    .max_flat_workgroup_size: 1024
    .name:           _ZN9rocsolver6v33100L16reset_batch_infoI19rocblas_complex_numIdEiiPS3_EEvT2_lT0_T1_
    .private_segment_fixed_size: 0
    .sgpr_count:     10
    .sgpr_spill_count: 0
    .symbol:         _ZN9rocsolver6v33100L16reset_batch_infoI19rocblas_complex_numIdEiiPS3_EEvT2_lT0_T1_.kd
    .uniform_work_group_size: 1
    .uses_dynamic_stack: false
    .vgpr_count:     6
    .vgpr_spill_count: 0
    .wavefront_size: 32
  - .args:
      - .offset:         0
        .size:           4
        .value_kind:     by_value
      - .offset:         4
        .size:           4
        .value_kind:     by_value
      - .address_space:  global
        .offset:         8
        .size:           8
        .value_kind:     global_buffer
      - .offset:         16
        .size:           4
        .value_kind:     by_value
      - .offset:         20
        .size:           4
        .value_kind:     by_value
      - .offset:         24
        .size:           8
        .value_kind:     by_value
      - .offset:         32
        .size:           4
        .value_kind:     hidden_block_count_x
      - .offset:         36
        .size:           4
        .value_kind:     hidden_block_count_y
      - .offset:         40
        .size:           4
        .value_kind:     hidden_block_count_z
      - .offset:         44
        .size:           2
        .value_kind:     hidden_group_size_x
      - .offset:         46
        .size:           2
        .value_kind:     hidden_group_size_y
      - .offset:         48
        .size:           2
        .value_kind:     hidden_group_size_z
      - .offset:         50
        .size:           2
        .value_kind:     hidden_remainder_x
      - .offset:         52
        .size:           2
        .value_kind:     hidden_remainder_y
      - .offset:         54
        .size:           2
        .value_kind:     hidden_remainder_z
      - .offset:         72
        .size:           8
        .value_kind:     hidden_global_offset_x
      - .offset:         80
        .size:           8
        .value_kind:     hidden_global_offset_y
      - .offset:         88
        .size:           8
        .value_kind:     hidden_global_offset_z
      - .offset:         96
        .size:           2
        .value_kind:     hidden_grid_dims
    .group_segment_fixed_size: 0
    .kernarg_segment_align: 8
    .kernarg_segment_size: 288
    .language:       OpenCL C
    .language_version:
      - 2
      - 0
    .max_flat_workgroup_size: 1024
    .name:           _ZN9rocsolver6v33100L10init_identI19rocblas_complex_numIdEPS3_EEviiT0_iil
    .private_segment_fixed_size: 0
    .sgpr_count:     13
    .sgpr_spill_count: 0
    .symbol:         _ZN9rocsolver6v33100L10init_identI19rocblas_complex_numIdEPS3_EEviiT0_iil.kd
    .uniform_work_group_size: 1
    .uses_dynamic_stack: false
    .vgpr_count:     5
    .vgpr_spill_count: 0
    .wavefront_size: 32
  - .args:
      - .offset:         0
        .size:           4
        .value_kind:     by_value
      - .offset:         4
        .size:           4
        .value_kind:     by_value
      - .offset:         8
        .size:           4
        .value_kind:     by_value
      - .offset:         12
        .size:           4
        .value_kind:     by_value
      - .offset:         16
        .size:           4
        .value_kind:     by_value
      - .address_space:  global
        .offset:         24
        .size:           8
        .value_kind:     global_buffer
      - .offset:         32
        .size:           8
        .value_kind:     by_value
      - .address_space:  global
        .offset:         40
        .size:           8
        .value_kind:     global_buffer
      - .offset:         48
        .size:           8
        .value_kind:     by_value
      - .address_space:  global
        .offset:         56
        .size:           8
        .value_kind:     global_buffer
      - .offset:         64
        .size:           8
        .value_kind:     by_value
      - .offset:         72
        .size:           4
        .value_kind:     by_value
      - .offset:         80
        .size:           8
        .value_kind:     by_value
      - .offset:         88
        .size:           4
        .value_kind:     by_value
      - .offset:         96
        .size:           4
        .value_kind:     hidden_block_count_x
      - .offset:         100
        .size:           4
        .value_kind:     hidden_block_count_y
      - .offset:         104
        .size:           4
        .value_kind:     hidden_block_count_z
      - .offset:         108
        .size:           2
        .value_kind:     hidden_group_size_x
      - .offset:         110
        .size:           2
        .value_kind:     hidden_group_size_y
      - .offset:         112
        .size:           2
        .value_kind:     hidden_group_size_z
      - .offset:         114
        .size:           2
        .value_kind:     hidden_remainder_x
      - .offset:         116
        .size:           2
        .value_kind:     hidden_remainder_y
      - .offset:         118
        .size:           2
        .value_kind:     hidden_remainder_z
      - .offset:         136
        .size:           8
        .value_kind:     hidden_global_offset_x
      - .offset:         144
        .size:           8
        .value_kind:     hidden_global_offset_y
      - .offset:         152
        .size:           8
        .value_kind:     hidden_global_offset_z
      - .offset:         160
        .size:           2
        .value_kind:     hidden_grid_dims
    .group_segment_fixed_size: 0
    .kernarg_segment_align: 8
    .kernarg_segment_size: 352
    .language:       OpenCL C
    .language_version:
      - 2
      - 0
    .max_flat_workgroup_size: 64
    .name:           _ZN9rocsolver6v33100L11lasr_kernelI19rocblas_complex_numIdEdPS3_iEEv13rocblas_side_14rocblas_pivot_15rocblas_direct_T2_S8_PT0_lSA_lT1_lS8_lS8_
    .private_segment_fixed_size: 0
    .sgpr_count:     93
    .sgpr_spill_count: 0
    .symbol:         _ZN9rocsolver6v33100L11lasr_kernelI19rocblas_complex_numIdEdPS3_iEEv13rocblas_side_14rocblas_pivot_15rocblas_direct_T2_S8_PT0_lSA_lT1_lS8_lS8_.kd
    .uniform_work_group_size: 1
    .uses_dynamic_stack: false
    .vgpr_count:     54
    .vgpr_spill_count: 0
    .wavefront_size: 32
  - .args:
      - .offset:         0
        .size:           4
        .value_kind:     by_value
      - .address_space:  global
        .offset:         8
        .size:           8
        .value_kind:     global_buffer
      - .offset:         16
        .size:           4
        .value_kind:     by_value
      - .address_space:  global
        .offset:         24
        .size:           8
        .value_kind:     global_buffer
      - .offset:         32
        .size:           4
        .value_kind:     by_value
      - .offset:         40
        .size:           4
        .value_kind:     hidden_block_count_x
      - .offset:         44
        .size:           4
        .value_kind:     hidden_block_count_y
      - .offset:         48
        .size:           4
        .value_kind:     hidden_block_count_z
      - .offset:         52
        .size:           2
        .value_kind:     hidden_group_size_x
      - .offset:         54
        .size:           2
        .value_kind:     hidden_group_size_y
      - .offset:         56
        .size:           2
        .value_kind:     hidden_group_size_z
      - .offset:         58
        .size:           2
        .value_kind:     hidden_remainder_x
      - .offset:         60
        .size:           2
        .value_kind:     hidden_remainder_y
      - .offset:         62
        .size:           2
        .value_kind:     hidden_remainder_z
      - .offset:         80
        .size:           8
        .value_kind:     hidden_global_offset_x
      - .offset:         88
        .size:           8
        .value_kind:     hidden_global_offset_y
      - .offset:         96
        .size:           8
        .value_kind:     hidden_global_offset_z
      - .offset:         104
        .size:           2
        .value_kind:     hidden_grid_dims
    .group_segment_fixed_size: 32768
    .kernarg_segment_align: 8
    .kernarg_segment_size: 296
    .language:       OpenCL C
    .language_version:
      - 2
      - 0
    .max_flat_workgroup_size: 1024
    .name:           _ZN9rocsolver6v33100L11swap_kernelI19rocblas_complex_numIdEiEEvT0_PT_S4_S6_S4_
    .private_segment_fixed_size: 0
    .sgpr_count:     18
    .sgpr_spill_count: 0
    .symbol:         _ZN9rocsolver6v33100L11swap_kernelI19rocblas_complex_numIdEiEEvT0_PT_S4_S6_S4_.kd
    .uniform_work_group_size: 1
    .uses_dynamic_stack: false
    .vgpr_count:     16
    .vgpr_spill_count: 0
    .wavefront_size: 32
  - .args:
      - .offset:         0
        .size:           4
        .value_kind:     by_value
      - .address_space:  global
        .offset:         8
        .size:           8
        .value_kind:     global_buffer
      - .offset:         16
        .size:           8
        .value_kind:     by_value
      - .address_space:  global
        .offset:         24
        .size:           8
        .value_kind:     global_buffer
      - .offset:         32
        .size:           8
        .value_kind:     by_value
      - .address_space:  global
        .offset:         40
        .size:           8
        .value_kind:     global_buffer
      - .offset:         48
        .size:           4
        .value_kind:     by_value
      - .offset:         52
        .size:           4
        .value_kind:     by_value
      - .offset:         56
        .size:           8
        .value_kind:     by_value
      - .address_space:  global
        .offset:         64
        .size:           8
        .value_kind:     global_buffer
      - .address_space:  global
        .offset:         72
        .size:           8
        .value_kind:     global_buffer
      - .offset:         80
        .size:           4
        .value_kind:     by_value
      - .offset:         88
        .size:           8
        .value_kind:     by_value
      - .offset:         96
        .size:           8
        .value_kind:     by_value
      - .offset:         104
        .size:           8
        .value_kind:     by_value
      - .offset:         112
        .size:           4
        .value_kind:     hidden_block_count_x
      - .offset:         116
        .size:           4
        .value_kind:     hidden_block_count_y
      - .offset:         120
        .size:           4
        .value_kind:     hidden_block_count_z
      - .offset:         124
        .size:           2
        .value_kind:     hidden_group_size_x
      - .offset:         126
        .size:           2
        .value_kind:     hidden_group_size_y
      - .offset:         128
        .size:           2
        .value_kind:     hidden_group_size_z
      - .offset:         130
        .size:           2
        .value_kind:     hidden_remainder_x
      - .offset:         132
        .size:           2
        .value_kind:     hidden_remainder_y
      - .offset:         134
        .size:           2
        .value_kind:     hidden_remainder_z
      - .offset:         152
        .size:           8
        .value_kind:     hidden_global_offset_x
      - .offset:         160
        .size:           8
        .value_kind:     hidden_global_offset_y
      - .offset:         168
        .size:           8
        .value_kind:     hidden_global_offset_z
      - .offset:         176
        .size:           2
        .value_kind:     hidden_grid_dims
    .group_segment_fixed_size: 16432
    .kernarg_segment_align: 8
    .kernarg_segment_size: 368
    .language:       OpenCL C
    .language_version:
      - 2
      - 0
    .max_flat_workgroup_size: 1024
    .name:           _ZN9rocsolver6v33100L12steqr_kernelI19rocblas_complex_numIdEdPS3_EEviPT0_lS6_lT1_iilPiS6_iS5_S5_S5_
    .private_segment_fixed_size: 0
    .sgpr_count:     92
    .sgpr_spill_count: 0
    .symbol:         _ZN9rocsolver6v33100L12steqr_kernelI19rocblas_complex_numIdEdPS3_EEviPT0_lS6_lT1_iilPiS6_iS5_S5_S5_.kd
    .uniform_work_group_size: 1
    .uses_dynamic_stack: false
    .vgpr_count:     74
    .vgpr_spill_count: 0
    .wavefront_size: 32
  - .args:
      - .offset:         0
        .size:           4
        .value_kind:     by_value
      - .offset:         4
        .size:           4
        .value_kind:     by_value
      - .offset:         8
        .size:           4
        .value_kind:     by_value
      - .address_space:  global
        .offset:         16
        .size:           8
        .value_kind:     global_buffer
      - .offset:         24
        .size:           4
        .value_kind:     by_value
      - .offset:         28
        .size:           4
        .value_kind:     by_value
      - .offset:         32
        .size:           8
        .value_kind:     by_value
      - .address_space:  global
        .offset:         40
        .size:           8
        .value_kind:     global_buffer
      - .offset:         48
        .size:           4
        .value_kind:     by_value
      - .offset:         52
        .size:           4
        .value_kind:     by_value
      - .offset:         56
        .size:           4
        .value_kind:     hidden_block_count_x
      - .offset:         60
        .size:           4
        .value_kind:     hidden_block_count_y
      - .offset:         64
        .size:           4
        .value_kind:     hidden_block_count_z
      - .offset:         68
        .size:           2
        .value_kind:     hidden_group_size_x
      - .offset:         70
        .size:           2
        .value_kind:     hidden_group_size_y
      - .offset:         72
        .size:           2
        .value_kind:     hidden_group_size_z
      - .offset:         74
        .size:           2
        .value_kind:     hidden_remainder_x
      - .offset:         76
        .size:           2
        .value_kind:     hidden_remainder_y
      - .offset:         78
        .size:           2
        .value_kind:     hidden_remainder_z
      - .offset:         96
        .size:           8
        .value_kind:     hidden_global_offset_x
      - .offset:         104
        .size:           8
        .value_kind:     hidden_global_offset_y
      - .offset:         112
        .size:           8
        .value_kind:     hidden_global_offset_z
      - .offset:         120
        .size:           2
        .value_kind:     hidden_grid_dims
    .group_segment_fixed_size: 0
    .kernarg_segment_align: 8
    .kernarg_segment_size: 312
    .language:       OpenCL C
    .language_version:
      - 2
      - 0
    .max_flat_workgroup_size: 1024
    .name:           _ZN9rocsolver6v33100L8copy_matI19rocblas_complex_numIdEdLb0EPS3_TnNSt9enable_ifIX18rocblas_is_complexIT_EEiE4typeELi0EEEvNS0_17copymat_directionEiiT2_iilPT0_13rocblas_fill_17rocblas_diagonal_
    .private_segment_fixed_size: 0
    .sgpr_count:     22
    .sgpr_spill_count: 0
    .symbol:         _ZN9rocsolver6v33100L8copy_matI19rocblas_complex_numIdEdLb0EPS3_TnNSt9enable_ifIX18rocblas_is_complexIT_EEiE4typeELi0EEEvNS0_17copymat_directionEiiT2_iilPT0_13rocblas_fill_17rocblas_diagonal_.kd
    .uniform_work_group_size: 1
    .uses_dynamic_stack: false
    .vgpr_count:     6
    .vgpr_spill_count: 0
    .wavefront_size: 32
  - .args:
      - .offset:         0
        .size:           4
        .value_kind:     by_value
      - .offset:         4
        .size:           4
        .value_kind:     by_value
      - .address_space:  global
        .offset:         8
        .size:           8
        .value_kind:     global_buffer
      - .offset:         16
        .size:           4
        .value_kind:     by_value
      - .offset:         20
        .size:           4
        .value_kind:     by_value
      - .offset:         24
        .size:           8
        .value_kind:     by_value
      - .offset:         32
        .size:           4
        .value_kind:     by_value
      - .offset:         40
        .size:           4
        .value_kind:     hidden_block_count_x
      - .offset:         44
        .size:           4
        .value_kind:     hidden_block_count_y
      - .offset:         48
        .size:           4
        .value_kind:     hidden_block_count_z
      - .offset:         52
        .size:           2
        .value_kind:     hidden_group_size_x
      - .offset:         54
        .size:           2
        .value_kind:     hidden_group_size_y
      - .offset:         56
        .size:           2
        .value_kind:     hidden_group_size_z
      - .offset:         58
        .size:           2
        .value_kind:     hidden_remainder_x
      - .offset:         60
        .size:           2
        .value_kind:     hidden_remainder_y
      - .offset:         62
        .size:           2
        .value_kind:     hidden_remainder_z
      - .offset:         80
        .size:           8
        .value_kind:     hidden_global_offset_x
      - .offset:         88
        .size:           8
        .value_kind:     hidden_global_offset_y
      - .offset:         96
        .size:           8
        .value_kind:     hidden_global_offset_z
      - .offset:         104
        .size:           2
        .value_kind:     hidden_grid_dims
    .group_segment_fixed_size: 0
    .kernarg_segment_align: 8
    .kernarg_segment_size: 296
    .language:       OpenCL C
    .language_version:
      - 2
      - 0
    .max_flat_workgroup_size: 1024
    .name:           _ZN9rocsolver6v33100L8set_zeroI19rocblas_complex_numIdEPS3_EEviiT0_iil13rocblas_fill_
    .private_segment_fixed_size: 0
    .sgpr_count:     14
    .sgpr_spill_count: 0
    .symbol:         _ZN9rocsolver6v33100L8set_zeroI19rocblas_complex_numIdEPS3_EEviiT0_iil13rocblas_fill_.kd
    .uniform_work_group_size: 1
    .uses_dynamic_stack: false
    .vgpr_count:     6
    .vgpr_spill_count: 0
    .wavefront_size: 32
  - .args:
      - .offset:         0
        .size:           4
        .value_kind:     by_value
      - .offset:         4
        .size:           4
        .value_kind:     by_value
      - .offset:         8
        .size:           4
        .value_kind:     by_value
      - .address_space:  global
        .offset:         16
        .size:           8
        .value_kind:     global_buffer
      - .offset:         24
        .size:           4
        .value_kind:     by_value
      - .offset:         28
        .size:           4
        .value_kind:     by_value
      - .offset:         32
        .size:           8
        .value_kind:     by_value
      - .address_space:  global
        .offset:         40
        .size:           8
        .value_kind:     global_buffer
      - .offset:         48
        .size:           4
        .value_kind:     by_value
      - .offset:         52
        .size:           4
        .value_kind:     by_value
      - .offset:         56
        .size:           4
        .value_kind:     hidden_block_count_x
      - .offset:         60
        .size:           4
        .value_kind:     hidden_block_count_y
      - .offset:         64
        .size:           4
        .value_kind:     hidden_block_count_z
      - .offset:         68
        .size:           2
        .value_kind:     hidden_group_size_x
      - .offset:         70
        .size:           2
        .value_kind:     hidden_group_size_y
      - .offset:         72
        .size:           2
        .value_kind:     hidden_group_size_z
      - .offset:         74
        .size:           2
        .value_kind:     hidden_remainder_x
      - .offset:         76
        .size:           2
        .value_kind:     hidden_remainder_y
      - .offset:         78
        .size:           2
        .value_kind:     hidden_remainder_z
      - .offset:         96
        .size:           8
        .value_kind:     hidden_global_offset_x
      - .offset:         104
        .size:           8
        .value_kind:     hidden_global_offset_y
      - .offset:         112
        .size:           8
        .value_kind:     hidden_global_offset_z
      - .offset:         120
        .size:           2
        .value_kind:     hidden_grid_dims
    .group_segment_fixed_size: 0
    .kernarg_segment_align: 8
    .kernarg_segment_size: 312
    .language:       OpenCL C
    .language_version:
      - 2
      - 0
    .max_flat_workgroup_size: 1024
    .name:           _ZN9rocsolver6v33100L8copy_matI19rocblas_complex_numIdEdLb1EPS3_TnNSt9enable_ifIX18rocblas_is_complexIT_EEiE4typeELi0EEEvNS0_17copymat_directionEiiT2_iilPT0_13rocblas_fill_17rocblas_diagonal_
    .private_segment_fixed_size: 0
    .sgpr_count:     22
    .sgpr_spill_count: 0
    .symbol:         _ZN9rocsolver6v33100L8copy_matI19rocblas_complex_numIdEdLb1EPS3_TnNSt9enable_ifIX18rocblas_is_complexIT_EEiE4typeELi0EEEvNS0_17copymat_directionEiiT2_iilPT0_13rocblas_fill_17rocblas_diagonal_.kd
    .uniform_work_group_size: 1
    .uses_dynamic_stack: false
    .vgpr_count:     8
    .vgpr_spill_count: 0
    .wavefront_size: 32
  - .args:
      - .offset:         0
        .size:           4
        .value_kind:     by_value
      - .address_space:  global
        .offset:         8
        .size:           8
        .value_kind:     global_buffer
      - .offset:         16
        .size:           4
        .value_kind:     by_value
      - .offset:         20
        .size:           4
        .value_kind:     by_value
      - .offset:         24
        .size:           8
        .value_kind:     by_value
      - .address_space:  global
        .offset:         32
        .size:           8
        .value_kind:     global_buffer
      - .offset:         40
        .size:           4
        .value_kind:     by_value
      - .offset:         44
        .size:           4
        .value_kind:     by_value
      - .offset:         48
        .size:           8
        .value_kind:     by_value
      - .offset:         56
        .size:           4
        .value_kind:     hidden_block_count_x
      - .offset:         60
        .size:           4
        .value_kind:     hidden_block_count_y
      - .offset:         64
        .size:           4
        .value_kind:     hidden_block_count_z
      - .offset:         68
        .size:           2
        .value_kind:     hidden_group_size_x
      - .offset:         70
        .size:           2
        .value_kind:     hidden_group_size_y
      - .offset:         72
        .size:           2
        .value_kind:     hidden_group_size_z
      - .offset:         74
        .size:           2
        .value_kind:     hidden_remainder_x
      - .offset:         76
        .size:           2
        .value_kind:     hidden_remainder_y
      - .offset:         78
        .size:           2
        .value_kind:     hidden_remainder_z
      - .offset:         96
        .size:           8
        .value_kind:     hidden_global_offset_x
      - .offset:         104
        .size:           8
        .value_kind:     hidden_global_offset_y
      - .offset:         112
        .size:           8
        .value_kind:     hidden_global_offset_z
      - .offset:         120
        .size:           2
        .value_kind:     hidden_grid_dims
    .group_segment_fixed_size: 0
    .kernarg_segment_align: 8
    .kernarg_segment_size: 312
    .language:       OpenCL C
    .language_version:
      - 2
      - 0
    .max_flat_workgroup_size: 512
    .name:           _ZN9rocsolver6v33100L11stedc_copyCI19rocblas_complex_numIdEPS3_S4_EEviT0_iilT1_iil
    .private_segment_fixed_size: 272
    .sgpr_count:     56
    .sgpr_spill_count: 0
    .symbol:         _ZN9rocsolver6v33100L11stedc_copyCI19rocblas_complex_numIdEPS3_S4_EEviT0_iilT1_iil.kd
    .uniform_work_group_size: 1
    .uses_dynamic_stack: false
    .vgpr_count:     20
    .vgpr_spill_count: 0
    .wavefront_size: 32
  - .args:
      - .offset:         0
        .size:           4
        .value_kind:     by_value
      - .address_space:  global
        .offset:         8
        .size:           8
        .value_kind:     global_buffer
      - .offset:         16
        .size:           8
        .value_kind:     by_value
      - .address_space:  global
        .offset:         24
        .size:           8
        .value_kind:     global_buffer
      - .offset:         32
        .size:           8
        .value_kind:     by_value
      - .address_space:  global
        .offset:         40
        .size:           8
        .value_kind:     global_buffer
      - .offset:         48
        .size:           4
        .value_kind:     by_value
      - .offset:         52
        .size:           4
        .value_kind:     by_value
      - .offset:         56
        .size:           8
        .value_kind:     by_value
      - .address_space:  global
        .offset:         64
        .size:           8
        .value_kind:     global_buffer
      - .offset:         72
        .size:           4
        .value_kind:     by_value
      - .offset:         76
        .size:           4
        .value_kind:     by_value
      - .offset:         80
        .size:           8
        .value_kind:     by_value
      - .offset:         88
        .size:           4
        .value_kind:     hidden_block_count_x
      - .offset:         92
        .size:           4
        .value_kind:     hidden_block_count_y
      - .offset:         96
        .size:           4
        .value_kind:     hidden_block_count_z
      - .offset:         100
        .size:           2
        .value_kind:     hidden_group_size_x
      - .offset:         102
        .size:           2
        .value_kind:     hidden_group_size_y
      - .offset:         104
        .size:           2
        .value_kind:     hidden_group_size_z
      - .offset:         106
        .size:           2
        .value_kind:     hidden_remainder_x
      - .offset:         108
        .size:           2
        .value_kind:     hidden_remainder_y
      - .offset:         110
        .size:           2
        .value_kind:     hidden_remainder_z
      - .offset:         128
        .size:           8
        .value_kind:     hidden_global_offset_x
      - .offset:         136
        .size:           8
        .value_kind:     hidden_global_offset_y
      - .offset:         144
        .size:           8
        .value_kind:     hidden_global_offset_z
      - .offset:         152
        .size:           2
        .value_kind:     hidden_grid_dims
    .group_segment_fixed_size: 67584
    .kernarg_segment_align: 8
    .kernarg_segment_size: 344
    .language:       OpenCL C
    .language_version:
      - 2
      - 0
    .max_flat_workgroup_size: 512
    .name:           _ZN9rocsolver6v33100L10stedc_sortI19rocblas_complex_numIdEdPS3_S4_EEviPT0_lS6_lT1_iilT2_iil
    .private_segment_fixed_size: 0
    .sgpr_count:     60
    .sgpr_spill_count: 0
    .symbol:         _ZN9rocsolver6v33100L10stedc_sortI19rocblas_complex_numIdEdPS3_S4_EEviPT0_lS6_lT1_iilT2_iil.kd
    .uniform_work_group_size: 1
    .uses_dynamic_stack: false
    .vgpr_count:     62
    .vgpr_spill_count: 0
    .wavefront_size: 32
amdhsa.target:   amdgcn-amd-amdhsa--gfx1250
amdhsa.version:
  - 1
  - 2
...

	.end_amdgpu_metadata
